;; amdgpu-corpus repo=vllm-project/vllm kind=compiled arch=gfx1100 opt=O3
	.text
	.amdgcn_target "amdgcn-amd-amdhsa--gfx1100"
	.amdhsa_code_object_version 6
	.section	.text._ZN4vllm31static_scaled_int8_quant_kernelIffEEvPKT_PaPKT0_i,"axG",@progbits,_ZN4vllm31static_scaled_int8_quant_kernelIffEEvPKT_PaPKT0_i,comdat
	.protected	_ZN4vllm31static_scaled_int8_quant_kernelIffEEvPKT_PaPKT0_i ; -- Begin function _ZN4vllm31static_scaled_int8_quant_kernelIffEEvPKT_PaPKT0_i
	.globl	_ZN4vllm31static_scaled_int8_quant_kernelIffEEvPKT_PaPKT0_i
	.p2align	8
	.type	_ZN4vllm31static_scaled_int8_quant_kernelIffEEvPKT_PaPKT0_i,@function
_ZN4vllm31static_scaled_int8_quant_kernelIffEEvPKT_PaPKT0_i: ; @_ZN4vllm31static_scaled_int8_quant_kernelIffEEvPKT_PaPKT0_i
; %bb.0:
	s_clause 0x3
	s_load_b32 s28, s[0:1], 0x18
	s_load_b64 s[2:3], s[0:1], 0x10
	s_load_b128 s[16:19], s[0:1], 0x0
	s_load_b32 s1, s[0:1], 0x2c
	s_waitcnt lgkmcnt(0)
	s_ashr_i32 s0, s28, 31
	s_mul_hi_u32 s4, s28, s15
	s_mul_i32 s0, s0, s15
	s_mul_i32 s22, s28, s15
	s_add_i32 s23, s4, s0
	s_load_b32 s26, s[2:3], 0x0
	s_lshl_b64 s[20:21], s[22:23], 2
	s_mov_b32 s3, 0
	s_add_u32 s0, s16, s20
	s_and_b32 s27, s1, 0xffff
	s_and_b32 s2, s0, 63
	s_delay_alu instid0(SALU_CYCLE_1) | instskip(SKIP_2) | instid1(SALU_CYCLE_1)
	s_cmp_lg_u64 s[2:3], 0
	s_cselect_b32 s1, -1, 0
	s_and_b32 s2, s28, 15
	s_cmp_lg_u32 s2, 0
	s_cselect_b32 s2, -1, 0
	s_delay_alu instid0(SALU_CYCLE_1) | instskip(NEXT) | instid1(SALU_CYCLE_1)
	s_or_b32 s1, s2, s1
	s_and_b32 vcc_lo, exec_lo, s1
	s_mov_b32 s1, -1
	s_cbranch_vccz .LBB0_11
; %bb.1:
	s_sub_i32 s0, 0, s0
	s_mov_b32 s1, exec_lo
	s_bfe_u32 s0, s0, 0x40002
	s_delay_alu instid0(SALU_CYCLE_1) | instskip(NEXT) | instid1(SALU_CYCLE_1)
	s_min_i32 s24, s0, s28
	v_cmpx_gt_i32_e64 s24, v0
	s_cbranch_execz .LBB0_4
; %bb.2:
	v_dual_mov_b32 v1, 0 :: v_dual_lshlrev_b32 v2, 2, v0
	s_add_u32 s2, s18, s22
	s_addc_u32 s3, s19, s23
	s_add_u32 s0, s16, s20
	s_addc_u32 s4, s17, s21
	v_add_co_u32 v2, s0, s0, v2
	s_delay_alu instid0(VALU_DEP_1)
	v_add_co_ci_u32_e64 v3, null, s4, 0, s0
	v_dual_mov_b32 v5, v1 :: v_dual_mov_b32 v4, v0
	s_mov_b32 s4, 0
	s_lshl_b32 s5, s27, 2
	s_set_inst_prefetch_distance 0x1
	.p2align	6
.LBB0_3:                                ; =>This Inner Loop Header: Depth=1
	global_load_b32 v1, v[2:3], off
	s_waitcnt vmcnt(0) lgkmcnt(0)
	v_div_scale_f32 v6, null, s26, s26, v1
	v_div_scale_f32 v9, vcc_lo, v1, s26, v1
	s_delay_alu instid0(VALU_DEP_2) | instskip(SKIP_2) | instid1(VALU_DEP_1)
	v_rcp_f32_e32 v7, v6
	s_waitcnt_depctr 0xfff
	v_fma_f32 v8, -v6, v7, 1.0
	v_fmac_f32_e32 v7, v8, v7
	s_delay_alu instid0(VALU_DEP_1) | instskip(NEXT) | instid1(VALU_DEP_1)
	v_mul_f32_e32 v8, v9, v7
	v_fma_f32 v10, -v6, v8, v9
	s_delay_alu instid0(VALU_DEP_1) | instskip(NEXT) | instid1(VALU_DEP_1)
	v_fmac_f32_e32 v8, v10, v7
	v_fma_f32 v6, -v6, v8, v9
	s_delay_alu instid0(VALU_DEP_1) | instskip(SKIP_1) | instid1(VALU_DEP_2)
	v_div_fmas_f32 v7, v6, v7, v8
	v_add_co_u32 v6, vcc_lo, s2, v4
	v_div_fixup_f32 v1, v7, s26, v1
	v_add_co_ci_u32_e32 v7, vcc_lo, s3, v5, vcc_lo
	v_add_co_u32 v4, vcc_lo, v4, s27
	s_delay_alu instid0(VALU_DEP_3) | instskip(SKIP_1) | instid1(VALU_DEP_2)
	v_rndne_f32_e32 v1, v1
	v_add_co_ci_u32_e32 v5, vcc_lo, 0, v5, vcc_lo
	v_cmp_nlt_f32_e64 s0, 0x42fe0000, v1
	v_cmp_ngt_f32_e32 vcc_lo, 0xc3000000, v1
	s_delay_alu instid0(VALU_DEP_2) | instskip(SKIP_1) | instid1(VALU_DEP_2)
	v_cndmask_b32_e64 v8, 0x42fe0000, v1, s0
	v_cmp_le_i32_e64 s0, s24, v4
	v_cndmask_b32_e32 v1, 0xc3000000, v8, vcc_lo
	v_add_co_u32 v2, vcc_lo, v2, s5
	v_add_co_ci_u32_e32 v3, vcc_lo, 0, v3, vcc_lo
	s_delay_alu instid0(VALU_DEP_3)
	v_cvt_i32_f32_e32 v1, v1
	s_or_b32 s4, s0, s4
	global_store_b8 v[6:7], v1, off
	s_and_not1_b32 exec_lo, exec_lo, s4
	s_cbranch_execnz .LBB0_3
.LBB0_4:
	s_set_inst_prefetch_distance 0x2
	s_or_b32 exec_lo, exec_lo, s1
	s_sub_i32 s29, s28, s24
	s_ashr_i32 s25, s24, 31
	s_ashr_i32 s0, s29, 31
	s_mov_b32 s31, exec_lo
	s_lshr_b32 s0, s0, 28
	s_delay_alu instid0(SALU_CYCLE_1) | instskip(NEXT) | instid1(SALU_CYCLE_1)
	s_add_i32 s0, s29, s0
	s_ashr_i32 s30, s0, 4
	s_delay_alu instid0(SALU_CYCLE_1)
	v_cmpx_gt_i32_e64 s30, v0
	s_cbranch_execz .LBB0_7
; %bb.5:
	v_lshlrev_b32_e32 v1, 4, v0
	s_add_u32 s0, s24, s22
	s_addc_u32 s1, s25, s23
	s_add_u32 s0, s18, s0
	s_addc_u32 s1, s19, s1
	v_add_co_u32 v17, s0, s0, v1
	s_delay_alu instid0(VALU_DEP_1)
	v_add_co_ci_u32_e64 v18, null, s1, 0, s0
	s_lshl_b64 s[0:1], s[24:25], 2
	s_lshl_b32 s33, s27, 4
	v_lshlrev_b32_e32 v1, 6, v0
	s_add_u32 s0, s16, s0
	s_addc_u32 s1, s17, s1
	s_add_u32 s0, s0, s20
	s_addc_u32 s1, s1, s21
	v_add_co_u32 v19, s0, s0, v1
	s_delay_alu instid0(VALU_DEP_1)
	v_add_co_ci_u32_e64 v20, null, s1, 0, s0
	v_mov_b32_e32 v21, v0
	s_mov_b32 s34, 0
	s_lshl_b32 s35, s27, 6
.LBB0_6:                                ; =>This Inner Loop Header: Depth=1
	s_clause 0x3
	global_load_b128 v[13:16], v[19:20], off
	global_load_b128 v[9:12], v[19:20], off offset:16
	global_load_b128 v[5:8], v[19:20], off offset:32
	;; [unrolled: 1-line block ×3, first 2 shown]
	v_add_co_u32 v19, vcc_lo, v19, s35
	v_add_co_ci_u32_e32 v20, vcc_lo, 0, v20, vcc_lo
	s_waitcnt vmcnt(3) lgkmcnt(0)
	v_div_scale_f32 v22, null, s26, s26, v13
	v_div_scale_f32 v24, null, s26, s26, v14
	;; [unrolled: 1-line block ×3, first 2 shown]
	s_waitcnt vmcnt(0)
	v_div_scale_f32 v52, null, s26, s26, v4
	v_rcp_f32_e32 v54, v22
	v_div_scale_f32 v28, null, s26, s26, v16
	v_rcp_f32_e32 v55, v24
	;; [unrolled: 2-line block ×3, first 2 shown]
	v_rcp_f32_e32 v69, v52
	v_div_scale_f32 v32, null, s26, s26, v10
	v_rcp_f32_e32 v57, v28
	v_div_scale_f32 v34, null, s26, s26, v11
	;; [unrolled: 2-line block ×3, first 2 shown]
	v_fma_f32 v70, -v22, v54, 1.0
	v_rcp_f32_e32 v59, v32
	v_rcp_f32_e32 v60, v34
	v_fma_f32 v71, -v24, v55, 1.0
	s_delay_alu instid0(VALU_DEP_2)
	v_dual_fmac_f32 v54, v70, v54 :: v_dual_add_nc_u32 v21, s27, v21
	v_div_scale_f32 v23, vcc_lo, v13, s26, v13
	v_div_scale_f32 v38, null, s26, s26, v5
	v_rcp_f32_e32 v61, v36
	v_fma_f32 v72, -v26, v56, 1.0
	v_fma_f32 v85, -v52, v69, 1.0
	;; [unrolled: 1-line block ×3, first 2 shown]
	v_div_scale_f32 v25, s1, v14, s26, v14
	s_delay_alu instid0(VALU_DEP_4)
	v_dual_fmac_f32 v55, v71, v55 :: v_dual_fmac_f32 v56, v72, v56
	v_fma_f32 v74, -v30, v58, 1.0
	v_div_scale_f32 v27, s2, v15, s26, v15
	v_rcp_f32_e32 v62, v38
	v_dual_fmac_f32 v69, v85, v69 :: v_dual_mul_f32 v70, v23, v54
	v_fma_f32 v75, -v32, v59, 1.0
	v_div_scale_f32 v29, s3, v16, s26, v16
	v_dual_fmac_f32 v57, v73, v57 :: v_dual_fmac_f32 v58, v74, v58
	v_fma_f32 v76, -v34, v60, 1.0
	v_dual_mul_f32 v71, v25, v55 :: v_dual_mul_f32 v72, v27, v56
	v_div_scale_f32 v31, s4, v9, s26, v9
	v_div_scale_f32 v40, null, s26, s26, v6
	v_div_scale_f32 v53, s15, v4, s26, v4
	v_fma_f32 v77, -v36, v61, 1.0
	v_fma_f32 v86, -v22, v70, v23
	v_div_scale_f32 v33, s5, v10, s26, v10
	v_dual_fmac_f32 v59, v75, v59 :: v_dual_fmac_f32 v60, v76, v60
	v_dual_mul_f32 v73, v29, v57 :: v_dual_mul_f32 v74, v31, v58
	v_div_scale_f32 v35, s6, v11, s26, v11
	v_fma_f32 v87, -v24, v71, v25
	v_div_scale_f32 v42, null, s26, s26, v7
	v_rcp_f32_e32 v63, v40
	v_div_scale_f32 v37, s7, v12, s26, v12
	v_fma_f32 v78, -v38, v62, 1.0
	v_fmac_f32_e32 v61, v77, v61
	v_dual_mul_f32 v85, v53, v69 :: v_dual_fmac_f32 v70, v86, v54
	v_fma_f32 v88, -v26, v72, v27
	v_dual_mul_f32 v75, v33, v59 :: v_dual_mul_f32 v76, v35, v60
	v_fma_f32 v89, -v28, v73, v29
	s_delay_alu instid0(VALU_DEP_3)
	v_dual_fmac_f32 v71, v87, v55 :: v_dual_fmac_f32 v72, v88, v56
	v_rcp_f32_e32 v64, v42
	v_fma_f32 v90, -v30, v74, v31
	v_div_scale_f32 v39, s8, v5, s26, v5
	v_dual_fmac_f32 v62, v78, v62 :: v_dual_mul_f32 v77, v37, v61
	v_fma_f32 v22, -v22, v70, v23
	v_fma_f32 v91, -v32, v75, v33
	v_dual_fmac_f32 v73, v89, v57 :: v_dual_fmac_f32 v74, v90, v58
	v_div_scale_f32 v44, null, s26, s26, v8
	v_fma_f32 v92, -v34, v76, v35
	v_fma_f32 v23, -v24, v71, v25
	v_fma_f32 v79, -v40, v63, 1.0
	v_mul_f32_e32 v78, v39, v62
	v_fma_f32 v86, -v36, v77, v37
	v_fma_f32 v24, -v26, v72, v27
	v_div_fmas_f32 v22, v22, v54, v70
	v_dual_fmac_f32 v75, v91, v59 :: v_dual_fmac_f32 v76, v92, v60
	s_mov_b32 vcc_lo, s1
	v_fma_f32 v25, -v28, v73, v29
	v_div_scale_f32 v46, null, s26, s26, v1
	v_rcp_f32_e32 v65, v44
	v_div_fmas_f32 v23, v23, v55, v71
	s_mov_b32 vcc_lo, s2
	v_div_scale_f32 v41, s9, v6, s26, v6
	v_fma_f32 v80, -v42, v64, 1.0
	v_fmac_f32_e32 v63, v79, v63
	v_fma_f32 v26, -v30, v74, v31
	v_fma_f32 v87, -v38, v78, v39
	v_fmac_f32_e32 v77, v86, v61
	v_div_fmas_f32 v24, v24, v56, v72
	v_div_fixup_f32 v13, v22, s26, v13
	s_mov_b32 vcc_lo, s3
	v_fmac_f32_e32 v78, v87, v62
	v_fma_f32 v27, -v32, v75, v33
	v_div_fmas_f32 v22, v25, v57, v73
	s_mov_b32 vcc_lo, s4
	v_rcp_f32_e32 v66, v46
	v_fma_f32 v28, -v34, v76, v35
	v_div_scale_f32 v43, s10, v7, s26, v7
	v_dual_fmac_f32 v64, v80, v64 :: v_dual_mul_f32 v79, v41, v63
	v_div_fixup_f32 v14, v23, s26, v14
	v_div_fmas_f32 v23, v26, v58, v74
	s_mov_b32 vcc_lo, s5
	s_delay_alu instid0(VALU_DEP_3)
	v_mul_f32_e32 v80, v43, v64
	v_fma_f32 v29, -v36, v77, v37
	v_rndne_f32_e32 v13, v13
	v_div_fixup_f32 v15, v24, s26, v15
	v_div_fmas_f32 v24, v27, v59, v75
	s_mov_b32 vcc_lo, s6
	v_div_scale_f32 v48, null, s26, s26, v2
	v_fma_f32 v81, -v44, v65, 1.0
	v_div_fixup_f32 v16, v22, s26, v16
	v_div_fmas_f32 v22, v28, v60, v76
	s_mov_b32 vcc_lo, s7
	v_fma_f32 v88, -v40, v79, v41
	v_div_fixup_f32 v9, v23, s26, v9
	v_div_fmas_f32 v23, v29, v61, v77
	v_cmp_nlt_f32_e32 vcc_lo, 0x42fe0000, v13
	v_div_scale_f32 v50, null, s26, s26, v3
	v_rcp_f32_e32 v67, v48
	v_fma_f32 v30, -v38, v78, v39
	v_rndne_f32_e32 v14, v14
	v_div_scale_f32 v45, s11, v8, s26, v8
	v_fma_f32 v82, -v46, v66, 1.0
	v_fmac_f32_e32 v65, v81, v65
	v_fma_f32 v89, -v42, v80, v43
	v_fmac_f32_e32 v79, v88, v63
	v_cndmask_b32_e32 v25, 0x42fe0000, v13, vcc_lo
	s_mov_b32 vcc_lo, s8
	v_rcp_f32_e32 v68, v50
	v_fma_f32 v87, -v52, v85, v53
	v_cmp_ngt_f32_e64 s1, 0xc3000000, v13
	v_rndne_f32_e32 v13, v16
	v_div_fmas_f32 v16, v30, v62, v78
	v_cmp_nlt_f32_e32 vcc_lo, 0x42fe0000, v14
	v_div_scale_f32 v47, s12, v1, s26, v1
	v_dual_fmac_f32 v66, v82, v66 :: v_dual_mul_f32 v81, v45, v65
	v_fmac_f32_e32 v80, v89, v64
	v_fma_f32 v31, -v40, v79, v41
	v_rndne_f32_e32 v15, v15
	s_delay_alu instid0(VALU_DEP_4)
	v_mul_f32_e32 v82, v47, v66
	v_fma_f32 v83, -v48, v67, 1.0
	v_fmac_f32_e32 v85, v87, v69
	v_div_fixup_f32 v10, v24, s26, v10
	v_cndmask_b32_e32 v24, 0x42fe0000, v14, vcc_lo
	s_mov_b32 vcc_lo, s9
	v_fma_f32 v90, -v44, v81, v45
	v_cmp_ngt_f32_e64 s2, 0xc3000000, v14
	v_div_fmas_f32 v14, v31, v63, v79
	v_cmp_nlt_f32_e32 vcc_lo, 0x42fe0000, v15
	v_fma_f32 v32, -v42, v80, v43
	v_div_scale_f32 v49, s13, v2, s26, v2
	v_fma_f32 v84, -v50, v68, 1.0
	v_fmac_f32_e32 v67, v83, v67
	v_fma_f32 v91, -v46, v82, v47
	v_fmac_f32_e32 v81, v90, v65
	v_div_fixup_f32 v11, v22, s26, v11
	v_cndmask_b32_e32 v22, 0x42fe0000, v15, vcc_lo
	s_mov_b32 vcc_lo, s10
	v_div_fixup_f32 v12, v23, s26, v12
	v_div_fmas_f32 v23, v32, v64, v80
	v_cmp_nlt_f32_e32 vcc_lo, 0x42fe0000, v13
	v_div_scale_f32 v51, s14, v3, s26, v3
	v_dual_fmac_f32 v68, v84, v68 :: v_dual_mul_f32 v83, v49, v67
	v_fmac_f32_e32 v82, v91, v66
	v_fma_f32 v33, -v44, v81, v45
	v_rndne_f32_e32 v9, v9
	s_delay_alu instid0(VALU_DEP_4)
	v_mul_f32_e32 v84, v51, v68
	v_cmp_ngt_f32_e64 s3, 0xc3000000, v15
	v_cndmask_b32_e64 v15, 0xc3000000, v25, s1
	v_cndmask_b32_e32 v25, 0x42fe0000, v13, vcc_lo
	s_mov_b32 vcc_lo, s11
	v_fma_f32 v92, -v48, v83, v49
	v_div_fixup_f32 v5, v16, s26, v5
	v_div_fmas_f32 v16, v33, v65, v81
	v_cmp_nlt_f32_e32 vcc_lo, 0x42fe0000, v9
	v_fma_f32 v34, -v46, v82, v47
	v_rndne_f32_e32 v10, v10
	v_fma_f32 v86, -v50, v84, v51
	v_fmac_f32_e32 v83, v92, v67
	v_cmp_ngt_f32_e64 s1, 0xc3000000, v13
	v_cndmask_b32_e64 v13, 0xc3000000, v24, s2
	v_cndmask_b32_e32 v24, 0x42fe0000, v9, vcc_lo
	s_mov_b32 vcc_lo, s12
	v_div_fixup_f32 v6, v14, s26, v6
	v_div_fmas_f32 v14, v34, v66, v82
	v_cmp_nlt_f32_e32 vcc_lo, 0x42fe0000, v10
	v_fmac_f32_e32 v84, v86, v68
	v_fma_f32 v35, -v48, v83, v49
	v_rndne_f32_e32 v11, v11
	v_cmp_ngt_f32_e64 s2, 0xc3000000, v9
	v_cndmask_b32_e64 v9, 0xc3000000, v22, s3
	v_cndmask_b32_e32 v22, 0x42fe0000, v10, vcc_lo
	s_mov_b32 vcc_lo, s13
	v_div_fixup_f32 v7, v23, s26, v7
	v_div_fmas_f32 v23, v35, v67, v83
	v_cmp_nlt_f32_e32 vcc_lo, 0x42fe0000, v11
	v_fma_f32 v36, -v50, v84, v51
	v_rndne_f32_e32 v12, v12
	v_cmp_ngt_f32_e64 s3, 0xc3000000, v10
	v_cndmask_b32_e64 v10, 0xc3000000, v25, s1
	v_cndmask_b32_e32 v25, 0x42fe0000, v11, vcc_lo
	s_mov_b32 vcc_lo, s14
	v_div_fixup_f32 v8, v16, s26, v8
	v_div_fmas_f32 v16, v36, v68, v84
	v_cmp_nlt_f32_e32 vcc_lo, 0x42fe0000, v12
	v_fma_f32 v37, -v52, v85, v53
	v_rndne_f32_e32 v5, v5
	v_cmp_ngt_f32_e64 s1, 0xc3000000, v11
	v_cndmask_b32_e64 v11, 0xc3000000, v24, s2
	v_cndmask_b32_e32 v24, 0x42fe0000, v12, vcc_lo
	s_mov_b32 vcc_lo, s15
	v_rndne_f32_e32 v6, v6
	v_div_fixup_f32 v1, v14, s26, v1
	v_div_fmas_f32 v14, v37, v69, v85
	v_cmp_nlt_f32_e32 vcc_lo, 0x42fe0000, v5
	v_cmp_ngt_f32_e64 s2, 0xc3000000, v12
	v_cndmask_b32_e64 v12, 0xc3000000, v22, s3
	v_rndne_f32_e32 v7, v7
	v_cvt_i32_f32_e32 v15, v15
	v_cndmask_b32_e32 v22, 0x42fe0000, v5, vcc_lo
	v_cmp_ngt_f32_e32 vcc_lo, 0xc3000000, v5
	v_cndmask_b32_e64 v5, 0xc3000000, v25, s1
	v_cmp_nlt_f32_e64 s1, 0x42fe0000, v6
	v_cvt_i32_f32_e32 v13, v13
	v_div_fixup_f32 v2, v23, s26, v2
	v_rndne_f32_e32 v8, v8
	v_and_b32_e32 v15, 0xff, v15
	v_cndmask_b32_e64 v23, 0x42fe0000, v6, s1
	v_cmp_ngt_f32_e64 s1, 0xc3000000, v6
	v_cndmask_b32_e64 v6, 0xc3000000, v24, s2
	v_cmp_nlt_f32_e64 s2, 0x42fe0000, v7
	v_lshlrev_b16 v13, 8, v13
	v_div_fixup_f32 v3, v16, s26, v3
	v_rndne_f32_e32 v1, v1
	v_cvt_i32_f32_e32 v9, v9
	v_cndmask_b32_e64 v16, 0x42fe0000, v7, s2
	v_cmp_ngt_f32_e64 s2, 0xc3000000, v7
	v_cndmask_b32_e32 v7, 0xc3000000, v22, vcc_lo
	v_cmp_nlt_f32_e32 vcc_lo, 0x42fe0000, v8
	v_cvt_i32_f32_e32 v10, v10
	v_div_fixup_f32 v4, v14, s26, v4
	v_rndne_f32_e32 v2, v2
	v_and_b32_e32 v9, 0xff, v9
	v_cndmask_b32_e32 v14, 0x42fe0000, v8, vcc_lo
	v_cmp_ngt_f32_e32 vcc_lo, 0xc3000000, v8
	v_or_b32_e32 v8, v15, v13
	v_cndmask_b32_e64 v13, 0xc3000000, v23, s1
	v_cmp_nlt_f32_e64 s1, 0x42fe0000, v1
	v_lshlrev_b16 v10, 8, v10
	v_rndne_f32_e32 v3, v3
	v_rndne_f32_e32 v4, v4
	v_cvt_i32_f32_e32 v11, v11
	v_cndmask_b32_e64 v15, 0x42fe0000, v1, s1
	v_cmp_ngt_f32_e64 s1, 0xc3000000, v1
	v_cndmask_b32_e64 v1, 0xc3000000, v16, s2
	v_cmp_nlt_f32_e64 s2, 0x42fe0000, v2
	v_cvt_i32_f32_e32 v12, v12
	v_cvt_i32_f32_e32 v5, v5
	;; [unrolled: 1-line block ×3, first 2 shown]
	v_and_b32_e32 v11, 0xff, v11
	v_cndmask_b32_e64 v16, 0x42fe0000, v2, s2
	v_cmp_ngt_f32_e64 s2, 0xc3000000, v2
	v_or_b32_e32 v2, v9, v10
	v_cndmask_b32_e32 v9, 0xc3000000, v14, vcc_lo
	v_cmp_nlt_f32_e32 vcc_lo, 0x42fe0000, v3
	v_cvt_i32_f32_e32 v10, v13
	v_lshlrev_b16 v12, 8, v12
	v_and_b32_e32 v5, 0xff, v5
	v_lshlrev_b16 v6, 8, v6
	v_cndmask_b32_e32 v13, 0x42fe0000, v3, vcc_lo
	v_cmp_ngt_f32_e32 vcc_lo, 0xc3000000, v3
	v_cndmask_b32_e64 v3, 0xc3000000, v15, s1
	v_cmp_nlt_f32_e64 s1, 0x42fe0000, v4
	v_cvt_i32_f32_e32 v7, v7
	v_and_b32_e32 v8, 0xffff, v8
	v_cvt_i32_f32_e32 v1, v1
	v_lshlrev_b32_e32 v2, 16, v2
	v_cndmask_b32_e64 v14, 0x42fe0000, v4, s1
	v_cmp_ngt_f32_e64 s1, 0xc3000000, v4
	v_or_b32_e32 v4, v11, v12
	v_cndmask_b32_e64 v11, 0xc3000000, v16, s2
	v_cvt_i32_f32_e32 v9, v9
	v_cndmask_b32_e32 v12, 0xc3000000, v13, vcc_lo
	v_or_b32_e32 v5, v5, v6
	v_cndmask_b32_e64 v6, 0xc3000000, v14, s1
	v_and_b32_e32 v7, 0xff, v7
	v_lshlrev_b16 v10, 8, v10
	v_cvt_i32_f32_e32 v3, v3
	v_and_b32_e32 v13, 0xff, v1
	v_and_b32_e32 v4, 0xffff, v4
	v_cvt_i32_f32_e32 v11, v11
	v_or_b32_e32 v1, v8, v2
	v_lshlrev_b16 v2, 8, v9
	v_cvt_i32_f32_e32 v8, v12
	v_lshlrev_b32_e32 v5, 16, v5
	v_cvt_i32_f32_e32 v6, v6
	v_or_b32_e32 v7, v7, v10
	v_and_b32_e32 v3, 0xff, v3
	v_lshlrev_b16 v9, 8, v11
	v_or_b32_e32 v10, v13, v2
	v_and_b32_e32 v8, 0xff, v8
	v_or_b32_e32 v2, v4, v5
	v_lshlrev_b16 v4, 8, v6
	v_or_b32_e32 v3, v3, v9
	v_lshlrev_b32_e32 v5, 16, v10
	v_and_b32_e32 v7, 0xffff, v7
	v_cmp_le_i32_e64 s0, s30, v21
	v_or_b32_e32 v4, v8, v4
	v_and_b32_e32 v6, 0xffff, v3
	s_delay_alu instid0(VALU_DEP_4) | instskip(NEXT) | instid1(VALU_DEP_4)
	v_or_b32_e32 v3, v7, v5
	s_or_b32 s34, s0, s34
	s_delay_alu instid0(VALU_DEP_3) | instskip(NEXT) | instid1(VALU_DEP_1)
	v_lshlrev_b32_e32 v4, 16, v4
	v_or_b32_e32 v4, v6, v4
	global_store_b128 v[17:18], v[1:4], off
	v_add_co_u32 v17, vcc_lo, v17, s33
	v_add_co_ci_u32_e32 v18, vcc_lo, 0, v18, vcc_lo
	s_and_not1_b32 exec_lo, exec_lo, s34
	s_cbranch_execnz .LBB0_6
.LBB0_7:
	s_or_b32 exec_lo, exec_lo, s31
	v_lshl_add_u32 v1, s30, 4, v0
	s_mov_b32 s1, exec_lo
	s_delay_alu instid0(VALU_DEP_1)
	v_cmpx_gt_i32_e64 s29, v1
	s_cbranch_execz .LBB0_10
; %bb.8:
	v_ashrrev_i32_e32 v2, 31, v1
	s_lshl_b64 s[2:3], s[24:25], 2
	s_mov_b32 s5, 0
	s_add_u32 s0, s20, s2
	s_addc_u32 s2, s21, s3
	v_lshlrev_b64 v[3:4], 2, v[1:2]
	s_add_u32 s0, s16, s0
	s_addc_u32 s2, s17, s2
	s_lshl_b32 s4, s27, 2
	s_delay_alu instid0(VALU_DEP_1)
	v_add_co_u32 v3, vcc_lo, s0, v3
	s_add_u32 s0, s24, s22
	v_add_co_ci_u32_e32 v4, vcc_lo, s2, v4, vcc_lo
	s_addc_u32 s2, s25, s23
	s_add_u32 s0, s18, s0
	s_addc_u32 s2, s19, s2
	v_add_co_u32 v5, vcc_lo, s0, v1
	v_add_co_ci_u32_e32 v2, vcc_lo, s2, v2, vcc_lo
	s_mov_b64 s[2:3], 0
	s_set_inst_prefetch_distance 0x1
	.p2align	6
.LBB0_9:                                ; =>This Inner Loop Header: Depth=1
	global_load_b32 v6, v[3:4], off
	s_waitcnt vmcnt(0) lgkmcnt(0)
	v_div_scale_f32 v7, null, s26, s26, v6
	v_div_scale_f32 v10, vcc_lo, v6, s26, v6
	s_delay_alu instid0(VALU_DEP_2) | instskip(SKIP_2) | instid1(VALU_DEP_1)
	v_rcp_f32_e32 v8, v7
	s_waitcnt_depctr 0xfff
	v_fma_f32 v9, -v7, v8, 1.0
	v_fmac_f32_e32 v8, v9, v8
	s_delay_alu instid0(VALU_DEP_1) | instskip(NEXT) | instid1(VALU_DEP_1)
	v_mul_f32_e32 v9, v10, v8
	v_fma_f32 v11, -v7, v9, v10
	s_delay_alu instid0(VALU_DEP_1) | instskip(NEXT) | instid1(VALU_DEP_1)
	v_fmac_f32_e32 v9, v11, v8
	v_fma_f32 v7, -v7, v9, v10
	s_delay_alu instid0(VALU_DEP_1) | instskip(NEXT) | instid1(VALU_DEP_1)
	v_div_fmas_f32 v7, v7, v8, v9
	v_div_fixup_f32 v6, v7, s26, v6
	s_delay_alu instid0(VALU_DEP_1) | instskip(SKIP_2) | instid1(VALU_DEP_3)
	v_rndne_f32_e32 v8, v6
	v_add_co_u32 v6, vcc_lo, v5, s2
	v_add_co_ci_u32_e32 v7, vcc_lo, s3, v2, vcc_lo
	v_cmp_nlt_f32_e64 s0, 0x42fe0000, v8
	v_cmp_ngt_f32_e32 vcc_lo, 0xc3000000, v8
	s_add_u32 s2, s2, s27
	s_addc_u32 s3, s3, 0
	v_add_nc_u32_e32 v10, s2, v1
	v_cndmask_b32_e64 v9, 0x42fe0000, v8, s0
	s_delay_alu instid0(VALU_DEP_2) | instskip(NEXT) | instid1(VALU_DEP_2)
	v_cmp_le_i32_e64 s0, s29, v10
	v_cndmask_b32_e32 v8, 0xc3000000, v9, vcc_lo
	v_add_co_u32 v3, vcc_lo, v3, s4
	v_add_co_ci_u32_e32 v4, vcc_lo, 0, v4, vcc_lo
	s_delay_alu instid0(VALU_DEP_3)
	v_cvt_i32_f32_e32 v8, v8
	s_or_b32 s5, s0, s5
	global_store_b8 v[6:7], v8, off
	s_and_not1_b32 exec_lo, exec_lo, s5
	s_cbranch_execnz .LBB0_9
.LBB0_10:
	s_set_inst_prefetch_distance 0x2
	s_or_b32 exec_lo, exec_lo, s1
	s_mov_b32 s1, 0
.LBB0_11:
	s_delay_alu instid0(SALU_CYCLE_1)
	s_and_b32 vcc_lo, exec_lo, s1
	s_cbranch_vccz .LBB0_15
; %bb.12:
	s_ashr_i32 s24, s28, 4
	s_mov_b32 s0, exec_lo
	v_cmpx_gt_i32_e64 s24, v0
	s_cbranch_execz .LBB0_15
; %bb.13:
	v_lshlrev_b32_e32 v1, 4, v0
	s_add_u32 s0, s18, s22
	s_addc_u32 s1, s19, s23
	s_lshl_b32 s18, s27, 4
	s_delay_alu instid0(VALU_DEP_1) | instskip(SKIP_4) | instid1(VALU_DEP_2)
	v_add_co_u32 v17, s0, s0, v1
	v_lshlrev_b32_e32 v1, 6, v0
	v_add_co_ci_u32_e64 v18, null, s1, 0, s0
	s_add_u32 s0, s16, s20
	s_addc_u32 s1, s17, s21
	v_add_co_u32 v19, s0, s0, v1
	s_delay_alu instid0(VALU_DEP_1)
	v_add_co_ci_u32_e64 v20, null, s1, 0, s0
	s_mov_b32 s16, 0
	s_lshl_b32 s17, s27, 6
.LBB0_14:                               ; =>This Inner Loop Header: Depth=1
	s_clause 0x3
	global_load_b128 v[13:16], v[19:20], off
	global_load_b128 v[9:12], v[19:20], off offset:16
	global_load_b128 v[5:8], v[19:20], off offset:32
	global_load_b128 v[1:4], v[19:20], off offset:48
	v_add_co_u32 v19, vcc_lo, v19, s17
	v_add_co_ci_u32_e32 v20, vcc_lo, 0, v20, vcc_lo
	s_waitcnt vmcnt(3) lgkmcnt(0)
	v_div_scale_f32 v21, null, s26, s26, v13
	v_div_scale_f32 v23, null, s26, s26, v14
	;; [unrolled: 1-line block ×3, first 2 shown]
	s_waitcnt vmcnt(0)
	v_div_scale_f32 v51, null, s26, s26, v4
	v_rcp_f32_e32 v53, v21
	v_div_scale_f32 v27, null, s26, s26, v16
	v_rcp_f32_e32 v54, v23
	;; [unrolled: 2-line block ×3, first 2 shown]
	v_rcp_f32_e32 v68, v51
	v_div_scale_f32 v31, null, s26, s26, v10
	v_rcp_f32_e32 v56, v27
	v_div_scale_f32 v33, null, s26, s26, v11
	;; [unrolled: 2-line block ×3, first 2 shown]
	v_fma_f32 v69, -v21, v53, 1.0
	v_rcp_f32_e32 v58, v31
	v_rcp_f32_e32 v59, v33
	v_fma_f32 v70, -v23, v54, 1.0
	s_delay_alu instid0(VALU_DEP_2)
	v_dual_fmac_f32 v53, v69, v53 :: v_dual_add_nc_u32 v0, s27, v0
	v_div_scale_f32 v22, vcc_lo, v13, s26, v13
	v_div_scale_f32 v37, null, s26, s26, v5
	v_rcp_f32_e32 v60, v35
	v_fma_f32 v71, -v25, v55, 1.0
	v_fma_f32 v84, -v51, v68, 1.0
	;; [unrolled: 1-line block ×3, first 2 shown]
	v_div_scale_f32 v24, s1, v14, s26, v14
	s_delay_alu instid0(VALU_DEP_4)
	v_dual_fmac_f32 v54, v70, v54 :: v_dual_fmac_f32 v55, v71, v55
	v_fma_f32 v73, -v29, v57, 1.0
	v_div_scale_f32 v26, s2, v15, s26, v15
	v_rcp_f32_e32 v61, v37
	v_dual_fmac_f32 v68, v84, v68 :: v_dual_mul_f32 v69, v22, v53
	v_fma_f32 v74, -v31, v58, 1.0
	v_div_scale_f32 v28, s3, v16, s26, v16
	v_dual_fmac_f32 v56, v72, v56 :: v_dual_fmac_f32 v57, v73, v57
	v_fma_f32 v75, -v33, v59, 1.0
	v_dual_mul_f32 v70, v24, v54 :: v_dual_mul_f32 v71, v26, v55
	v_div_scale_f32 v30, s4, v9, s26, v9
	v_div_scale_f32 v39, null, s26, s26, v6
	v_div_scale_f32 v52, s15, v4, s26, v4
	v_fma_f32 v76, -v35, v60, 1.0
	v_fma_f32 v85, -v21, v69, v22
	v_div_scale_f32 v32, s5, v10, s26, v10
	v_dual_fmac_f32 v58, v74, v58 :: v_dual_fmac_f32 v59, v75, v59
	v_dual_mul_f32 v72, v28, v56 :: v_dual_mul_f32 v73, v30, v57
	v_div_scale_f32 v34, s6, v11, s26, v11
	v_fma_f32 v86, -v23, v70, v24
	v_div_scale_f32 v41, null, s26, s26, v7
	v_rcp_f32_e32 v62, v39
	v_div_scale_f32 v36, s7, v12, s26, v12
	v_fma_f32 v77, -v37, v61, 1.0
	v_fmac_f32_e32 v60, v76, v60
	v_dual_mul_f32 v84, v52, v68 :: v_dual_fmac_f32 v69, v85, v53
	v_fma_f32 v87, -v25, v71, v26
	v_dual_mul_f32 v74, v32, v58 :: v_dual_mul_f32 v75, v34, v59
	v_fma_f32 v88, -v27, v72, v28
	s_delay_alu instid0(VALU_DEP_3)
	v_dual_fmac_f32 v70, v86, v54 :: v_dual_fmac_f32 v71, v87, v55
	v_rcp_f32_e32 v63, v41
	v_fma_f32 v89, -v29, v73, v30
	v_div_scale_f32 v38, s8, v5, s26, v5
	v_dual_fmac_f32 v61, v77, v61 :: v_dual_mul_f32 v76, v36, v60
	v_fma_f32 v21, -v21, v69, v22
	v_fma_f32 v90, -v31, v74, v32
	v_dual_fmac_f32 v72, v88, v56 :: v_dual_fmac_f32 v73, v89, v57
	v_div_scale_f32 v43, null, s26, s26, v8
	v_fma_f32 v85, -v33, v75, v34
	v_fma_f32 v22, -v23, v70, v24
	v_fma_f32 v78, -v39, v62, 1.0
	v_mul_f32_e32 v77, v38, v61
	v_fma_f32 v86, -v35, v76, v36
	v_fma_f32 v23, -v25, v71, v26
	v_div_fmas_f32 v21, v21, v53, v69
	v_dual_fmac_f32 v74, v90, v58 :: v_dual_fmac_f32 v75, v85, v59
	s_mov_b32 vcc_lo, s1
	v_fma_f32 v24, -v27, v72, v28
	v_div_scale_f32 v45, null, s26, s26, v1
	v_rcp_f32_e32 v64, v43
	v_div_fmas_f32 v22, v22, v54, v70
	s_mov_b32 vcc_lo, s2
	v_div_scale_f32 v40, s9, v6, s26, v6
	v_fma_f32 v79, -v41, v63, 1.0
	v_fmac_f32_e32 v62, v78, v62
	v_fma_f32 v25, -v29, v73, v30
	v_fma_f32 v87, -v37, v77, v38
	v_fmac_f32_e32 v76, v86, v60
	v_div_fmas_f32 v23, v23, v55, v71
	v_div_fixup_f32 v13, v21, s26, v13
	s_mov_b32 vcc_lo, s3
	v_fmac_f32_e32 v77, v87, v61
	v_fma_f32 v26, -v31, v74, v32
	v_div_fmas_f32 v21, v24, v56, v72
	s_mov_b32 vcc_lo, s4
	v_rcp_f32_e32 v65, v45
	v_fma_f32 v27, -v33, v75, v34
	v_div_scale_f32 v42, s10, v7, s26, v7
	v_dual_fmac_f32 v63, v79, v63 :: v_dual_mul_f32 v78, v40, v62
	v_div_fixup_f32 v14, v22, s26, v14
	v_div_fmas_f32 v22, v25, v57, v73
	s_mov_b32 vcc_lo, s5
	s_delay_alu instid0(VALU_DEP_3)
	v_mul_f32_e32 v79, v42, v63
	v_fma_f32 v28, -v35, v76, v36
	v_rndne_f32_e32 v13, v13
	v_div_fixup_f32 v15, v23, s26, v15
	v_div_fmas_f32 v23, v26, v58, v74
	s_mov_b32 vcc_lo, s6
	v_div_scale_f32 v47, null, s26, s26, v2
	v_fma_f32 v80, -v43, v64, 1.0
	v_div_fixup_f32 v16, v21, s26, v16
	v_div_fmas_f32 v21, v27, v59, v75
	s_mov_b32 vcc_lo, s7
	v_fma_f32 v88, -v39, v78, v40
	v_div_fixup_f32 v9, v22, s26, v9
	v_div_fmas_f32 v22, v28, v60, v76
	v_cmp_nlt_f32_e32 vcc_lo, 0x42fe0000, v13
	v_div_scale_f32 v49, null, s26, s26, v3
	v_rcp_f32_e32 v66, v47
	v_fma_f32 v29, -v37, v77, v38
	v_rndne_f32_e32 v14, v14
	v_div_scale_f32 v44, s11, v8, s26, v8
	v_fma_f32 v81, -v45, v65, 1.0
	v_fmac_f32_e32 v64, v80, v64
	v_fma_f32 v89, -v41, v79, v42
	v_fmac_f32_e32 v78, v88, v62
	v_cndmask_b32_e32 v24, 0x42fe0000, v13, vcc_lo
	s_mov_b32 vcc_lo, s8
	v_rcp_f32_e32 v67, v49
	v_fma_f32 v88, -v51, v84, v52
	v_cmp_ngt_f32_e64 s1, 0xc3000000, v13
	v_rndne_f32_e32 v13, v16
	v_div_fmas_f32 v16, v29, v61, v77
	v_cmp_nlt_f32_e32 vcc_lo, 0x42fe0000, v14
	v_div_scale_f32 v46, s12, v1, s26, v1
	v_dual_fmac_f32 v65, v81, v65 :: v_dual_mul_f32 v80, v44, v64
	v_fmac_f32_e32 v79, v89, v63
	v_fma_f32 v30, -v39, v78, v40
	v_rndne_f32_e32 v15, v15
	s_delay_alu instid0(VALU_DEP_4)
	v_mul_f32_e32 v81, v46, v65
	v_fma_f32 v82, -v47, v66, 1.0
	v_fmac_f32_e32 v84, v88, v68
	v_div_fixup_f32 v10, v23, s26, v10
	v_cndmask_b32_e32 v23, 0x42fe0000, v14, vcc_lo
	s_mov_b32 vcc_lo, s9
	v_fma_f32 v90, -v43, v80, v44
	v_cmp_ngt_f32_e64 s2, 0xc3000000, v14
	v_div_fmas_f32 v14, v30, v62, v78
	v_cmp_nlt_f32_e32 vcc_lo, 0x42fe0000, v15
	v_fma_f32 v31, -v41, v79, v42
	v_div_scale_f32 v48, s13, v2, s26, v2
	v_fma_f32 v83, -v49, v67, 1.0
	v_fmac_f32_e32 v66, v82, v66
	v_fma_f32 v85, -v45, v81, v46
	v_fmac_f32_e32 v80, v90, v64
	v_div_fixup_f32 v11, v21, s26, v11
	v_cndmask_b32_e32 v21, 0x42fe0000, v15, vcc_lo
	s_mov_b32 vcc_lo, s10
	v_div_fixup_f32 v12, v22, s26, v12
	v_div_fmas_f32 v22, v31, v63, v79
	v_cmp_nlt_f32_e32 vcc_lo, 0x42fe0000, v13
	v_div_scale_f32 v50, s14, v3, s26, v3
	v_dual_fmac_f32 v67, v83, v67 :: v_dual_mul_f32 v82, v48, v66
	v_fmac_f32_e32 v81, v85, v65
	v_fma_f32 v32, -v43, v80, v44
	v_rndne_f32_e32 v9, v9
	s_delay_alu instid0(VALU_DEP_4)
	v_mul_f32_e32 v83, v50, v67
	v_cmp_ngt_f32_e64 s3, 0xc3000000, v15
	v_cndmask_b32_e64 v15, 0xc3000000, v24, s1
	v_cndmask_b32_e32 v24, 0x42fe0000, v13, vcc_lo
	s_mov_b32 vcc_lo, s11
	v_fma_f32 v86, -v47, v82, v48
	v_div_fixup_f32 v5, v16, s26, v5
	v_div_fmas_f32 v16, v32, v64, v80
	v_cmp_nlt_f32_e32 vcc_lo, 0x42fe0000, v9
	v_fma_f32 v33, -v45, v81, v46
	v_rndne_f32_e32 v10, v10
	v_fma_f32 v87, -v49, v83, v50
	v_fmac_f32_e32 v82, v86, v66
	v_cmp_ngt_f32_e64 s1, 0xc3000000, v13
	v_cndmask_b32_e64 v13, 0xc3000000, v23, s2
	v_cndmask_b32_e32 v23, 0x42fe0000, v9, vcc_lo
	s_mov_b32 vcc_lo, s12
	v_div_fixup_f32 v6, v14, s26, v6
	v_div_fmas_f32 v14, v33, v65, v81
	v_cmp_nlt_f32_e32 vcc_lo, 0x42fe0000, v10
	v_fmac_f32_e32 v83, v87, v67
	v_fma_f32 v34, -v47, v82, v48
	v_rndne_f32_e32 v11, v11
	v_cmp_ngt_f32_e64 s2, 0xc3000000, v9
	v_cndmask_b32_e64 v9, 0xc3000000, v21, s3
	v_cndmask_b32_e32 v21, 0x42fe0000, v10, vcc_lo
	s_mov_b32 vcc_lo, s13
	v_div_fixup_f32 v7, v22, s26, v7
	v_div_fmas_f32 v22, v34, v66, v82
	v_cmp_nlt_f32_e32 vcc_lo, 0x42fe0000, v11
	v_fma_f32 v35, -v49, v83, v50
	v_rndne_f32_e32 v12, v12
	v_cmp_ngt_f32_e64 s3, 0xc3000000, v10
	v_cndmask_b32_e64 v10, 0xc3000000, v24, s1
	v_cndmask_b32_e32 v24, 0x42fe0000, v11, vcc_lo
	s_mov_b32 vcc_lo, s14
	v_div_fixup_f32 v8, v16, s26, v8
	v_div_fmas_f32 v16, v35, v67, v83
	v_cmp_nlt_f32_e32 vcc_lo, 0x42fe0000, v12
	v_fma_f32 v36, -v51, v84, v52
	v_rndne_f32_e32 v5, v5
	v_cmp_ngt_f32_e64 s1, 0xc3000000, v11
	v_cndmask_b32_e64 v11, 0xc3000000, v23, s2
	v_cndmask_b32_e32 v23, 0x42fe0000, v12, vcc_lo
	s_mov_b32 vcc_lo, s15
	v_rndne_f32_e32 v6, v6
	v_div_fixup_f32 v1, v14, s26, v1
	v_div_fmas_f32 v14, v36, v68, v84
	v_cmp_nlt_f32_e32 vcc_lo, 0x42fe0000, v5
	v_cmp_ngt_f32_e64 s2, 0xc3000000, v12
	v_cndmask_b32_e64 v12, 0xc3000000, v21, s3
	v_rndne_f32_e32 v7, v7
	v_cvt_i32_f32_e32 v15, v15
	v_cndmask_b32_e32 v21, 0x42fe0000, v5, vcc_lo
	v_cmp_ngt_f32_e32 vcc_lo, 0xc3000000, v5
	v_cndmask_b32_e64 v5, 0xc3000000, v24, s1
	v_cmp_nlt_f32_e64 s1, 0x42fe0000, v6
	v_cvt_i32_f32_e32 v13, v13
	v_div_fixup_f32 v2, v22, s26, v2
	v_rndne_f32_e32 v8, v8
	v_and_b32_e32 v15, 0xff, v15
	v_cndmask_b32_e64 v22, 0x42fe0000, v6, s1
	v_cmp_ngt_f32_e64 s1, 0xc3000000, v6
	v_cndmask_b32_e64 v6, 0xc3000000, v23, s2
	v_cmp_nlt_f32_e64 s2, 0x42fe0000, v7
	v_lshlrev_b16 v13, 8, v13
	v_div_fixup_f32 v3, v16, s26, v3
	v_rndne_f32_e32 v1, v1
	v_cvt_i32_f32_e32 v9, v9
	v_cndmask_b32_e64 v16, 0x42fe0000, v7, s2
	v_cmp_ngt_f32_e64 s2, 0xc3000000, v7
	v_cndmask_b32_e32 v7, 0xc3000000, v21, vcc_lo
	v_cmp_nlt_f32_e32 vcc_lo, 0x42fe0000, v8
	v_cvt_i32_f32_e32 v10, v10
	v_div_fixup_f32 v4, v14, s26, v4
	v_rndne_f32_e32 v2, v2
	v_and_b32_e32 v9, 0xff, v9
	v_cndmask_b32_e32 v14, 0x42fe0000, v8, vcc_lo
	v_cmp_ngt_f32_e32 vcc_lo, 0xc3000000, v8
	v_or_b32_e32 v8, v15, v13
	v_cndmask_b32_e64 v13, 0xc3000000, v22, s1
	v_cmp_nlt_f32_e64 s1, 0x42fe0000, v1
	v_lshlrev_b16 v10, 8, v10
	v_rndne_f32_e32 v3, v3
	v_rndne_f32_e32 v4, v4
	v_cvt_i32_f32_e32 v11, v11
	v_cndmask_b32_e64 v15, 0x42fe0000, v1, s1
	v_cmp_ngt_f32_e64 s1, 0xc3000000, v1
	v_cndmask_b32_e64 v1, 0xc3000000, v16, s2
	v_cmp_nlt_f32_e64 s2, 0x42fe0000, v2
	v_cvt_i32_f32_e32 v12, v12
	v_cvt_i32_f32_e32 v5, v5
	;; [unrolled: 1-line block ×3, first 2 shown]
	v_and_b32_e32 v11, 0xff, v11
	v_cndmask_b32_e64 v16, 0x42fe0000, v2, s2
	v_cmp_ngt_f32_e64 s2, 0xc3000000, v2
	v_or_b32_e32 v2, v9, v10
	v_cndmask_b32_e32 v9, 0xc3000000, v14, vcc_lo
	v_cmp_nlt_f32_e32 vcc_lo, 0x42fe0000, v3
	v_cvt_i32_f32_e32 v10, v13
	v_lshlrev_b16 v12, 8, v12
	v_and_b32_e32 v5, 0xff, v5
	v_lshlrev_b16 v6, 8, v6
	v_cndmask_b32_e32 v13, 0x42fe0000, v3, vcc_lo
	v_cmp_ngt_f32_e32 vcc_lo, 0xc3000000, v3
	v_cndmask_b32_e64 v3, 0xc3000000, v15, s1
	v_cmp_nlt_f32_e64 s1, 0x42fe0000, v4
	v_cvt_i32_f32_e32 v7, v7
	v_and_b32_e32 v8, 0xffff, v8
	v_cvt_i32_f32_e32 v1, v1
	v_lshlrev_b32_e32 v2, 16, v2
	v_cndmask_b32_e64 v14, 0x42fe0000, v4, s1
	v_cmp_ngt_f32_e64 s1, 0xc3000000, v4
	v_or_b32_e32 v4, v11, v12
	v_cndmask_b32_e64 v11, 0xc3000000, v16, s2
	v_cvt_i32_f32_e32 v9, v9
	v_cndmask_b32_e32 v12, 0xc3000000, v13, vcc_lo
	v_or_b32_e32 v5, v5, v6
	v_cndmask_b32_e64 v6, 0xc3000000, v14, s1
	v_and_b32_e32 v7, 0xff, v7
	v_lshlrev_b16 v10, 8, v10
	v_cvt_i32_f32_e32 v3, v3
	v_lshlrev_b32_e32 v5, 16, v5
	v_and_b32_e32 v13, 0xff, v1
	v_and_b32_e32 v4, 0xffff, v4
	v_cvt_i32_f32_e32 v11, v11
	v_or_b32_e32 v1, v8, v2
	v_lshlrev_b16 v2, 8, v9
	v_cvt_i32_f32_e32 v8, v12
	v_cvt_i32_f32_e32 v6, v6
	v_or_b32_e32 v7, v7, v10
	v_and_b32_e32 v3, 0xff, v3
	v_lshlrev_b16 v9, 8, v11
	v_or_b32_e32 v10, v13, v2
	v_and_b32_e32 v8, 0xff, v8
	v_or_b32_e32 v2, v4, v5
	v_lshlrev_b16 v4, 8, v6
	v_or_b32_e32 v3, v3, v9
	v_and_b32_e32 v7, 0xffff, v7
	v_lshlrev_b32_e32 v5, 16, v10
	v_cmp_le_i32_e64 s0, s24, v0
	v_or_b32_e32 v4, v8, v4
	v_and_b32_e32 v6, 0xffff, v3
	s_delay_alu instid0(VALU_DEP_4) | instskip(NEXT) | instid1(VALU_DEP_4)
	v_or_b32_e32 v3, v7, v5
	s_or_b32 s16, s0, s16
	s_delay_alu instid0(VALU_DEP_3) | instskip(NEXT) | instid1(VALU_DEP_1)
	v_lshlrev_b32_e32 v4, 16, v4
	v_or_b32_e32 v4, v6, v4
	global_store_b128 v[17:18], v[1:4], off
	v_add_co_u32 v17, vcc_lo, v17, s18
	v_add_co_ci_u32_e32 v18, vcc_lo, 0, v18, vcc_lo
	s_and_not1_b32 exec_lo, exec_lo, s16
	s_cbranch_execnz .LBB0_14
.LBB0_15:
	s_nop 0
	s_sendmsg sendmsg(MSG_DEALLOC_VGPRS)
	s_endpgm
	.section	.rodata,"a",@progbits
	.p2align	6, 0x0
	.amdhsa_kernel _ZN4vllm31static_scaled_int8_quant_kernelIffEEvPKT_PaPKT0_i
		.amdhsa_group_segment_fixed_size 0
		.amdhsa_private_segment_fixed_size 0
		.amdhsa_kernarg_size 288
		.amdhsa_user_sgpr_count 15
		.amdhsa_user_sgpr_dispatch_ptr 0
		.amdhsa_user_sgpr_queue_ptr 0
		.amdhsa_user_sgpr_kernarg_segment_ptr 1
		.amdhsa_user_sgpr_dispatch_id 0
		.amdhsa_user_sgpr_private_segment_size 0
		.amdhsa_wavefront_size32 1
		.amdhsa_uses_dynamic_stack 0
		.amdhsa_enable_private_segment 0
		.amdhsa_system_sgpr_workgroup_id_x 1
		.amdhsa_system_sgpr_workgroup_id_y 0
		.amdhsa_system_sgpr_workgroup_id_z 0
		.amdhsa_system_sgpr_workgroup_info 0
		.amdhsa_system_vgpr_workitem_id 0
		.amdhsa_next_free_vgpr 93
		.amdhsa_next_free_sgpr 36
		.amdhsa_reserve_vcc 1
		.amdhsa_float_round_mode_32 0
		.amdhsa_float_round_mode_16_64 0
		.amdhsa_float_denorm_mode_32 3
		.amdhsa_float_denorm_mode_16_64 3
		.amdhsa_dx10_clamp 1
		.amdhsa_ieee_mode 1
		.amdhsa_fp16_overflow 0
		.amdhsa_workgroup_processor_mode 1
		.amdhsa_memory_ordered 1
		.amdhsa_forward_progress 0
		.amdhsa_shared_vgpr_count 0
		.amdhsa_exception_fp_ieee_invalid_op 0
		.amdhsa_exception_fp_denorm_src 0
		.amdhsa_exception_fp_ieee_div_zero 0
		.amdhsa_exception_fp_ieee_overflow 0
		.amdhsa_exception_fp_ieee_underflow 0
		.amdhsa_exception_fp_ieee_inexact 0
		.amdhsa_exception_int_div_zero 0
	.end_amdhsa_kernel
	.section	.text._ZN4vllm31static_scaled_int8_quant_kernelIffEEvPKT_PaPKT0_i,"axG",@progbits,_ZN4vllm31static_scaled_int8_quant_kernelIffEEvPKT_PaPKT0_i,comdat
.Lfunc_end0:
	.size	_ZN4vllm31static_scaled_int8_quant_kernelIffEEvPKT_PaPKT0_i, .Lfunc_end0-_ZN4vllm31static_scaled_int8_quant_kernelIffEEvPKT_PaPKT0_i
                                        ; -- End function
	.section	.AMDGPU.csdata,"",@progbits
; Kernel info:
; codeLenInByte = 5808
; NumSgprs: 38
; NumVgprs: 93
; ScratchSize: 0
; MemoryBound: 0
; FloatMode: 240
; IeeeMode: 1
; LDSByteSize: 0 bytes/workgroup (compile time only)
; SGPRBlocks: 4
; VGPRBlocks: 11
; NumSGPRsForWavesPerEU: 38
; NumVGPRsForWavesPerEU: 93
; Occupancy: 16
; WaveLimiterHint : 0
; COMPUTE_PGM_RSRC2:SCRATCH_EN: 0
; COMPUTE_PGM_RSRC2:USER_SGPR: 15
; COMPUTE_PGM_RSRC2:TRAP_HANDLER: 0
; COMPUTE_PGM_RSRC2:TGID_X_EN: 1
; COMPUTE_PGM_RSRC2:TGID_Y_EN: 0
; COMPUTE_PGM_RSRC2:TGID_Z_EN: 0
; COMPUTE_PGM_RSRC2:TIDIG_COMP_CNT: 0
	.section	.text._ZN4vllm35static_scaled_int8_azp_quant_kernelIffiEEvPKT_PaPKT0_PKT1_i,"axG",@progbits,_ZN4vllm35static_scaled_int8_azp_quant_kernelIffiEEvPKT_PaPKT0_PKT1_i,comdat
	.protected	_ZN4vllm35static_scaled_int8_azp_quant_kernelIffiEEvPKT_PaPKT0_PKT1_i ; -- Begin function _ZN4vllm35static_scaled_int8_azp_quant_kernelIffiEEvPKT_PaPKT0_PKT1_i
	.globl	_ZN4vllm35static_scaled_int8_azp_quant_kernelIffiEEvPKT_PaPKT0_PKT1_i
	.p2align	8
	.type	_ZN4vllm35static_scaled_int8_azp_quant_kernelIffiEEvPKT_PaPKT0_PKT1_i,@function
_ZN4vllm35static_scaled_int8_azp_quant_kernelIffiEEvPKT_PaPKT0_PKT1_i: ; @_ZN4vllm35static_scaled_int8_azp_quant_kernelIffiEEvPKT_PaPKT0_PKT1_i
; %bb.0:
	s_clause 0x2
	s_load_b256 s[4:11], s[0:1], 0x0
	s_load_b32 s13, s[0:1], 0x20
	s_load_b32 s0, s[0:1], 0x34
	s_waitcnt lgkmcnt(0)
	s_load_b32 s16, s[8:9], 0x0
	s_ashr_i32 s1, s13, 31
	s_mul_hi_u32 s2, s13, s15
	s_mul_i32 s1, s1, s15
	s_mul_i32 s8, s13, s15
	s_add_i32 s9, s2, s1
	s_load_b32 s12, s[10:11], 0x0
	s_lshl_b64 s[2:3], s[8:9], 2
	s_and_b32 s1, s0, 0xffff
	s_add_u32 s0, s4, s2
	s_mov_b32 s15, 0
	s_and_b32 s14, s0, 63
	s_delay_alu instid0(SALU_CYCLE_1) | instskip(SKIP_2) | instid1(SALU_CYCLE_1)
	s_cmp_lg_u64 s[14:15], 0
	s_cselect_b32 s10, -1, 0
	s_and_b32 s11, s13, 15
	s_cmp_lg_u32 s11, 0
	s_cselect_b32 s11, -1, 0
	s_waitcnt lgkmcnt(0)
	v_div_scale_f32 v1, null, s16, s16, 1.0
	v_div_scale_f32 v4, vcc_lo, 1.0, s16, 1.0
	s_or_b32 s10, s11, s10
	s_delay_alu instid0(VALU_DEP_2) | instskip(SKIP_2) | instid1(VALU_DEP_1)
	v_rcp_f32_e32 v2, v1
	s_waitcnt_depctr 0xfff
	v_fma_f32 v3, -v1, v2, 1.0
	v_fmac_f32_e32 v2, v3, v2
	s_delay_alu instid0(VALU_DEP_1) | instskip(NEXT) | instid1(VALU_DEP_1)
	v_mul_f32_e32 v3, v4, v2
	v_fma_f32 v5, -v1, v3, v4
	s_delay_alu instid0(VALU_DEP_1) | instskip(NEXT) | instid1(VALU_DEP_1)
	v_fmac_f32_e32 v3, v5, v2
	v_fma_f32 v1, -v1, v3, v4
	s_delay_alu instid0(VALU_DEP_1) | instskip(SKIP_2) | instid1(VALU_DEP_1)
	v_div_fmas_f32 v1, v1, v2, v3
	s_and_b32 vcc_lo, exec_lo, s10
	s_mov_b32 s10, -1
	v_div_fixup_f32 v21, v1, s16, 1.0
	s_cbranch_vccz .LBB1_83
; %bb.1:
	s_sub_i32 s0, 0, s0
	s_mov_b32 s11, exec_lo
	s_bfe_u32 s0, s0, 0x40002
	s_delay_alu instid0(SALU_CYCLE_1) | instskip(NEXT) | instid1(SALU_CYCLE_1)
	s_min_i32 s10, s0, s13
	v_cmpx_gt_i32_e64 s10, v0
	s_cbranch_execz .LBB1_8
; %bb.2:
	v_dual_mov_b32 v1, 0 :: v_dual_lshlrev_b32 v2, 2, v0
	s_add_u32 s14, s6, s8
	s_addc_u32 s15, s7, s9
	s_add_u32 s0, s4, s2
	s_addc_u32 s16, s5, s3
	v_add_co_u32 v2, s0, s0, v2
	s_delay_alu instid0(VALU_DEP_1)
	v_add_co_ci_u32_e64 v3, null, s16, 0, s0
	v_dual_mov_b32 v5, v1 :: v_dual_mov_b32 v4, v0
	s_mov_b32 s16, 0
	s_lshl_b32 s17, s1, 2
	s_movk_i32 s18, 0xff80
	s_set_inst_prefetch_distance 0x1
	s_branch .LBB1_5
	.p2align	6
.LBB1_3:                                ;   in Loop: Header=BB1_5 Depth=1
	s_or_b32 exec_lo, exec_lo, s19
.LBB1_4:                                ;   in Loop: Header=BB1_5 Depth=1
	s_delay_alu instid0(SALU_CYCLE_1)
	s_or_b32 exec_lo, exec_lo, s0
	v_add_co_u32 v6, vcc_lo, s14, v4
	v_add_co_u32 v4, s0, v4, s1
	v_add_nc_u32_e32 v1, s12, v1
	v_add_co_ci_u32_e32 v7, vcc_lo, s15, v5, vcc_lo
	v_add_co_ci_u32_e64 v5, vcc_lo, 0, v5, s0
	s_delay_alu instid0(VALU_DEP_4)
	v_cmp_le_i32_e32 vcc_lo, s10, v4
	v_add_co_u32 v2, s0, v2, s17
	v_med3_i32 v1, v1, s18, 0x7f
	v_add_co_ci_u32_e64 v3, s0, 0, v3, s0
	s_or_b32 s16, vcc_lo, s16
	global_store_b8 v[6:7], v1, off
	s_and_not1_b32 exec_lo, exec_lo, s16
	s_cbranch_execz .LBB1_8
.LBB1_5:                                ; =>This Inner Loop Header: Depth=1
	global_load_b32 v1, v[2:3], off
	s_mov_b32 s0, exec_lo
	s_waitcnt vmcnt(0)
	v_mul_f32_e32 v1, v21, v1
	s_delay_alu instid0(VALU_DEP_1) | instskip(SKIP_1) | instid1(VALU_DEP_2)
	v_rndne_f32_e32 v6, v1
	v_bfrev_b32_e32 v1, -2
	v_cmpx_nle_f32_e32 0x4f000000, v6
	s_cbranch_execz .LBB1_4
; %bb.6:                                ;   in Loop: Header=BB1_5 Depth=1
	v_bfrev_b32_e32 v1, 1
	s_mov_b32 s19, exec_lo
	v_cmpx_nge_f32_e32 0xcf000000, v6
	s_cbranch_execz .LBB1_3
; %bb.7:                                ;   in Loop: Header=BB1_5 Depth=1
	v_cvt_i32_f32_e32 v1, v6
	s_branch .LBB1_3
.LBB1_8:
	s_set_inst_prefetch_distance 0x2
	s_or_b32 exec_lo, exec_lo, s11
	s_sub_i32 s14, s13, s10
	s_ashr_i32 s11, s10, 31
	s_ashr_i32 s0, s14, 31
	s_mov_b32 s16, exec_lo
	s_lshr_b32 s0, s0, 28
	s_delay_alu instid0(SALU_CYCLE_1) | instskip(NEXT) | instid1(SALU_CYCLE_1)
	s_add_i32 s0, s14, s0
	s_ashr_i32 s15, s0, 4
	s_delay_alu instid0(SALU_CYCLE_1)
	v_cmpx_gt_i32_e64 s15, v0
	s_cbranch_execz .LBB1_75
; %bb.9:
	v_dual_mov_b32 v22, v0 :: v_dual_lshlrev_b32 v1, 4, v0
	s_add_u32 s0, s10, s8
	s_addc_u32 s17, s11, s9
	s_add_u32 s0, s6, s0
	s_addc_u32 s17, s7, s17
	v_add_co_u32 v17, s0, s0, v1
	s_lshl_b64 s[18:19], s[10:11], 2
	v_add_co_ci_u32_e64 v18, null, s17, 0, s0
	s_lshl_b32 s17, s1, 4
	v_lshlrev_b32_e32 v1, 6, v0
	s_add_u32 s0, s4, s18
	s_addc_u32 s18, s5, s19
	s_add_u32 s0, s0, s2
	s_addc_u32 s18, s18, s3
	v_add_co_u32 v19, s0, s0, v1
	s_delay_alu instid0(VALU_DEP_1)
	v_add_co_ci_u32_e64 v20, null, s18, 0, s0
	s_mov_b32 s18, 0
	s_lshl_b32 s19, s1, 6
	s_movk_i32 s20, 0xff80
	s_branch .LBB1_12
.LBB1_10:                               ;   in Loop: Header=BB1_12 Depth=1
	s_or_b32 exec_lo, exec_lo, s21
.LBB1_11:                               ;   in Loop: Header=BB1_12 Depth=1
	s_delay_alu instid0(SALU_CYCLE_1)
	s_or_b32 exec_lo, exec_lo, s0
	v_add_nc_u32_e32 v3, s12, v3
	v_add_nc_u32_e32 v4, s12, v8
	v_add_nc_u32_e32 v1, s12, v1
	v_add_nc_u32_e32 v8, s12, v12
	v_add_nc_u32_e32 v5, s12, v5
	v_add_nc_u32_e32 v2, s12, v2
	v_med3_i32 v3, v3, s20, 0x7f
	v_med3_i32 v4, v4, s20, 0x7f
	;; [unrolled: 1-line block ×6, first 2 shown]
	v_add_nc_u32_e32 v7, s12, v7
	v_add_nc_u32_e32 v6, s12, v6
	;; [unrolled: 1-line block ×8, first 2 shown]
	v_lshlrev_b16 v4, 8, v4
	v_and_b32_e32 v1, 0xff, v1
	v_lshlrev_b16 v2, 8, v2
	v_and_b32_e32 v3, 0xff, v3
	;; [unrolled: 2-line block ×3, first 2 shown]
	v_add_nc_u32_e32 v13, s12, v13
	v_add_nc_u32_e32 v16, s12, v23
	v_med3_i32 v7, v7, s20, 0x7f
	v_med3_i32 v6, v6, s20, 0x7f
	;; [unrolled: 1-line block ×8, first 2 shown]
	v_or_b32_e32 v1, v1, v4
	v_or_b32_e32 v2, v3, v2
	;; [unrolled: 1-line block ×3, first 2 shown]
	v_med3_i32 v4, v13, s20, 0x7f
	v_med3_i32 v5, v16, s20, 0x7f
	v_lshlrev_b16 v7, 8, v7
	v_and_b32_e32 v6, 0xff, v6
	v_lshlrev_b16 v8, 8, v12
	v_and_b32_e32 v9, 0xff, v9
	;; [unrolled: 2-line block ×5, first 2 shown]
	v_or_b32_e32 v6, v6, v7
	v_or_b32_e32 v7, v9, v8
	;; [unrolled: 1-line block ×5, first 2 shown]
	v_and_b32_e32 v1, 0xffff, v1
	v_lshlrev_b32_e32 v2, 16, v2
	v_and_b32_e32 v3, 0xffff, v3
	v_lshlrev_b32_e32 v6, 16, v6
	;; [unrolled: 2-line block ×4, first 2 shown]
	v_or_b32_e32 v4, v1, v2
	v_or_b32_e32 v3, v3, v6
	;; [unrolled: 1-line block ×3, first 2 shown]
	v_add_nc_u32_e32 v22, s1, v22
	v_or_b32_e32 v1, v9, v5
	v_add_co_u32 v19, s0, v19, s19
	s_delay_alu instid0(VALU_DEP_1)
	v_add_co_ci_u32_e64 v20, s0, 0, v20, s0
	global_store_b128 v[17:18], v[1:4], off
	v_add_co_u32 v17, vcc_lo, v17, s17
	v_add_co_ci_u32_e32 v18, vcc_lo, 0, v18, vcc_lo
	v_cmp_le_i32_e32 vcc_lo, s15, v22
	s_or_b32 s18, vcc_lo, s18
	s_delay_alu instid0(SALU_CYCLE_1)
	s_and_not1_b32 exec_lo, exec_lo, s18
	s_cbranch_execz .LBB1_75
.LBB1_12:                               ; =>This Inner Loop Header: Depth=1
	s_clause 0x3
	global_load_b128 v[13:16], v[19:20], off
	global_load_b128 v[9:12], v[19:20], off offset:16
	global_load_b128 v[1:4], v[19:20], off offset:48
	;; [unrolled: 1-line block ×3, first 2 shown]
	v_bfrev_b32_e32 v23, -2
	s_mov_b32 s0, exec_lo
	s_waitcnt vmcnt(3)
	v_mul_f32_e32 v13, v21, v13
	s_delay_alu instid0(VALU_DEP_1) | instskip(SKIP_1) | instid1(VALU_DEP_2)
	v_rndne_f32_e32 v24, v13
	v_bfrev_b32_e32 v13, -2
	v_cmpx_nle_f32_e32 0x4f000000, v24
	s_cbranch_execz .LBB1_16
; %bb.13:                               ;   in Loop: Header=BB1_12 Depth=1
	v_bfrev_b32_e32 v23, 1
	s_mov_b32 s21, exec_lo
	v_cmpx_nge_f32_e32 0xcf000000, v24
; %bb.14:                               ;   in Loop: Header=BB1_12 Depth=1
	v_cvt_i32_f32_e32 v23, v24
; %bb.15:                               ;   in Loop: Header=BB1_12 Depth=1
	s_or_b32 exec_lo, exec_lo, s21
.LBB1_16:                               ;   in Loop: Header=BB1_12 Depth=1
	s_delay_alu instid0(SALU_CYCLE_1) | instskip(SKIP_2) | instid1(VALU_DEP_1)
	s_or_b32 exec_lo, exec_lo, s0
	v_mul_f32_e32 v14, v21, v14
	s_mov_b32 s0, exec_lo
	v_rndne_f32_e32 v14, v14
	s_delay_alu instid0(VALU_DEP_1)
	v_cmpx_nle_f32_e32 0x4f000000, v14
	s_cbranch_execz .LBB1_20
; %bb.17:                               ;   in Loop: Header=BB1_12 Depth=1
	v_bfrev_b32_e32 v13, 1
	s_mov_b32 s21, exec_lo
	v_cmpx_nge_f32_e32 0xcf000000, v14
; %bb.18:                               ;   in Loop: Header=BB1_12 Depth=1
	v_cvt_i32_f32_e32 v13, v14
; %bb.19:                               ;   in Loop: Header=BB1_12 Depth=1
	s_or_b32 exec_lo, exec_lo, s21
.LBB1_20:                               ;   in Loop: Header=BB1_12 Depth=1
	s_delay_alu instid0(SALU_CYCLE_1) | instskip(SKIP_3) | instid1(VALU_DEP_2)
	s_or_b32 exec_lo, exec_lo, s0
	v_mul_f32_e32 v14, v21, v15
	v_bfrev_b32_e32 v15, -2
	s_mov_b32 s0, exec_lo
	v_rndne_f32_e32 v24, v14
	v_bfrev_b32_e32 v14, -2
	s_delay_alu instid0(VALU_DEP_2)
	v_cmpx_nle_f32_e32 0x4f000000, v24
	s_cbranch_execz .LBB1_24
; %bb.21:                               ;   in Loop: Header=BB1_12 Depth=1
	v_bfrev_b32_e32 v15, 1
	s_mov_b32 s21, exec_lo
	v_cmpx_nge_f32_e32 0xcf000000, v24
; %bb.22:                               ;   in Loop: Header=BB1_12 Depth=1
	v_cvt_i32_f32_e32 v15, v24
; %bb.23:                               ;   in Loop: Header=BB1_12 Depth=1
	s_or_b32 exec_lo, exec_lo, s21
.LBB1_24:                               ;   in Loop: Header=BB1_12 Depth=1
	s_delay_alu instid0(SALU_CYCLE_1) | instskip(SKIP_2) | instid1(VALU_DEP_1)
	s_or_b32 exec_lo, exec_lo, s0
	v_mul_f32_e32 v16, v21, v16
	s_mov_b32 s0, exec_lo
	v_rndne_f32_e32 v16, v16
	s_delay_alu instid0(VALU_DEP_1)
	v_cmpx_nle_f32_e32 0x4f000000, v16
	s_cbranch_execz .LBB1_28
; %bb.25:                               ;   in Loop: Header=BB1_12 Depth=1
	v_bfrev_b32_e32 v14, 1
	s_mov_b32 s21, exec_lo
	v_cmpx_nge_f32_e32 0xcf000000, v16
; %bb.26:                               ;   in Loop: Header=BB1_12 Depth=1
	v_cvt_i32_f32_e32 v14, v16
; %bb.27:                               ;   in Loop: Header=BB1_12 Depth=1
	s_or_b32 exec_lo, exec_lo, s21
.LBB1_28:                               ;   in Loop: Header=BB1_12 Depth=1
	s_delay_alu instid0(SALU_CYCLE_1) | instskip(SKIP_4) | instid1(VALU_DEP_2)
	s_or_b32 exec_lo, exec_lo, s0
	s_waitcnt vmcnt(2)
	v_mul_f32_e32 v9, v21, v9
	v_bfrev_b32_e32 v16, -2
	s_mov_b32 s0, exec_lo
	v_rndne_f32_e32 v24, v9
	v_bfrev_b32_e32 v9, -2
	s_delay_alu instid0(VALU_DEP_2)
	v_cmpx_nle_f32_e32 0x4f000000, v24
	s_cbranch_execz .LBB1_32
; %bb.29:                               ;   in Loop: Header=BB1_12 Depth=1
	v_bfrev_b32_e32 v9, 1
	s_mov_b32 s21, exec_lo
	v_cmpx_nge_f32_e32 0xcf000000, v24
; %bb.30:                               ;   in Loop: Header=BB1_12 Depth=1
	v_cvt_i32_f32_e32 v9, v24
; %bb.31:                               ;   in Loop: Header=BB1_12 Depth=1
	s_or_b32 exec_lo, exec_lo, s21
.LBB1_32:                               ;   in Loop: Header=BB1_12 Depth=1
	s_delay_alu instid0(SALU_CYCLE_1) | instskip(SKIP_2) | instid1(VALU_DEP_1)
	s_or_b32 exec_lo, exec_lo, s0
	v_mul_f32_e32 v10, v21, v10
	s_mov_b32 s0, exec_lo
	v_rndne_f32_e32 v10, v10
	s_delay_alu instid0(VALU_DEP_1)
	v_cmpx_nle_f32_e32 0x4f000000, v10
	s_cbranch_execz .LBB1_36
; %bb.33:                               ;   in Loop: Header=BB1_12 Depth=1
	v_bfrev_b32_e32 v16, 1
	s_mov_b32 s21, exec_lo
	v_cmpx_nge_f32_e32 0xcf000000, v10
; %bb.34:                               ;   in Loop: Header=BB1_12 Depth=1
	v_cvt_i32_f32_e32 v16, v10
; %bb.35:                               ;   in Loop: Header=BB1_12 Depth=1
	s_or_b32 exec_lo, exec_lo, s21
.LBB1_36:                               ;   in Loop: Header=BB1_12 Depth=1
	s_delay_alu instid0(SALU_CYCLE_1) | instskip(SKIP_3) | instid1(VALU_DEP_2)
	s_or_b32 exec_lo, exec_lo, s0
	v_mul_f32_e32 v10, v21, v11
	v_bfrev_b32_e32 v11, -2
	s_mov_b32 s0, exec_lo
	v_rndne_f32_e32 v24, v10
	v_bfrev_b32_e32 v10, -2
	s_delay_alu instid0(VALU_DEP_2)
	v_cmpx_nle_f32_e32 0x4f000000, v24
	s_cbranch_execz .LBB1_40
; %bb.37:                               ;   in Loop: Header=BB1_12 Depth=1
	v_bfrev_b32_e32 v10, 1
	s_mov_b32 s21, exec_lo
	v_cmpx_nge_f32_e32 0xcf000000, v24
; %bb.38:                               ;   in Loop: Header=BB1_12 Depth=1
	v_cvt_i32_f32_e32 v10, v24
; %bb.39:                               ;   in Loop: Header=BB1_12 Depth=1
	s_or_b32 exec_lo, exec_lo, s21
.LBB1_40:                               ;   in Loop: Header=BB1_12 Depth=1
	s_delay_alu instid0(SALU_CYCLE_1) | instskip(SKIP_2) | instid1(VALU_DEP_1)
	s_or_b32 exec_lo, exec_lo, s0
	v_mul_f32_e32 v12, v21, v12
	s_mov_b32 s0, exec_lo
	v_rndne_f32_e32 v12, v12
	s_delay_alu instid0(VALU_DEP_1)
	v_cmpx_nle_f32_e32 0x4f000000, v12
	s_cbranch_execz .LBB1_44
; %bb.41:                               ;   in Loop: Header=BB1_12 Depth=1
	v_bfrev_b32_e32 v11, 1
	s_mov_b32 s21, exec_lo
	v_cmpx_nge_f32_e32 0xcf000000, v12
; %bb.42:                               ;   in Loop: Header=BB1_12 Depth=1
	v_cvt_i32_f32_e32 v11, v12
; %bb.43:                               ;   in Loop: Header=BB1_12 Depth=1
	s_or_b32 exec_lo, exec_lo, s21
.LBB1_44:                               ;   in Loop: Header=BB1_12 Depth=1
	s_delay_alu instid0(SALU_CYCLE_1) | instskip(SKIP_4) | instid1(VALU_DEP_2)
	s_or_b32 exec_lo, exec_lo, s0
	s_waitcnt vmcnt(0)
	v_mul_f32_e32 v5, v21, v5
	v_bfrev_b32_e32 v12, -2
	s_mov_b32 s0, exec_lo
	v_rndne_f32_e32 v24, v5
	v_bfrev_b32_e32 v5, -2
	s_delay_alu instid0(VALU_DEP_2)
	v_cmpx_nle_f32_e32 0x4f000000, v24
	s_cbranch_execz .LBB1_48
; %bb.45:                               ;   in Loop: Header=BB1_12 Depth=1
	v_bfrev_b32_e32 v5, 1
	s_mov_b32 s21, exec_lo
	v_cmpx_nge_f32_e32 0xcf000000, v24
; %bb.46:                               ;   in Loop: Header=BB1_12 Depth=1
	v_cvt_i32_f32_e32 v5, v24
; %bb.47:                               ;   in Loop: Header=BB1_12 Depth=1
	s_or_b32 exec_lo, exec_lo, s21
.LBB1_48:                               ;   in Loop: Header=BB1_12 Depth=1
	s_delay_alu instid0(SALU_CYCLE_1) | instskip(SKIP_2) | instid1(VALU_DEP_1)
	s_or_b32 exec_lo, exec_lo, s0
	v_mul_f32_e32 v6, v21, v6
	s_mov_b32 s0, exec_lo
	v_rndne_f32_e32 v6, v6
	s_delay_alu instid0(VALU_DEP_1)
	v_cmpx_nle_f32_e32 0x4f000000, v6
	s_cbranch_execz .LBB1_52
; %bb.49:                               ;   in Loop: Header=BB1_12 Depth=1
	v_bfrev_b32_e32 v12, 1
	s_mov_b32 s21, exec_lo
	v_cmpx_nge_f32_e32 0xcf000000, v6
; %bb.50:                               ;   in Loop: Header=BB1_12 Depth=1
	v_cvt_i32_f32_e32 v12, v6
; %bb.51:                               ;   in Loop: Header=BB1_12 Depth=1
	s_or_b32 exec_lo, exec_lo, s21
.LBB1_52:                               ;   in Loop: Header=BB1_12 Depth=1
	s_delay_alu instid0(SALU_CYCLE_1) | instskip(SKIP_3) | instid1(VALU_DEP_2)
	s_or_b32 exec_lo, exec_lo, s0
	v_mul_f32_e32 v6, v21, v7
	v_bfrev_b32_e32 v7, -2
	s_mov_b32 s0, exec_lo
	v_rndne_f32_e32 v24, v6
	v_bfrev_b32_e32 v6, -2
	s_delay_alu instid0(VALU_DEP_2)
	v_cmpx_nle_f32_e32 0x4f000000, v24
	s_cbranch_execz .LBB1_56
; %bb.53:                               ;   in Loop: Header=BB1_12 Depth=1
	v_bfrev_b32_e32 v6, 1
	s_mov_b32 s21, exec_lo
	v_cmpx_nge_f32_e32 0xcf000000, v24
; %bb.54:                               ;   in Loop: Header=BB1_12 Depth=1
	v_cvt_i32_f32_e32 v6, v24
; %bb.55:                               ;   in Loop: Header=BB1_12 Depth=1
	s_or_b32 exec_lo, exec_lo, s21
.LBB1_56:                               ;   in Loop: Header=BB1_12 Depth=1
	s_delay_alu instid0(SALU_CYCLE_1) | instskip(SKIP_2) | instid1(VALU_DEP_1)
	s_or_b32 exec_lo, exec_lo, s0
	v_mul_f32_e32 v8, v21, v8
	s_mov_b32 s0, exec_lo
	v_rndne_f32_e32 v8, v8
	s_delay_alu instid0(VALU_DEP_1)
	v_cmpx_nle_f32_e32 0x4f000000, v8
	s_cbranch_execz .LBB1_60
; %bb.57:                               ;   in Loop: Header=BB1_12 Depth=1
	v_bfrev_b32_e32 v7, 1
	s_mov_b32 s21, exec_lo
	v_cmpx_nge_f32_e32 0xcf000000, v8
; %bb.58:                               ;   in Loop: Header=BB1_12 Depth=1
	v_cvt_i32_f32_e32 v7, v8
; %bb.59:                               ;   in Loop: Header=BB1_12 Depth=1
	s_or_b32 exec_lo, exec_lo, s21
.LBB1_60:                               ;   in Loop: Header=BB1_12 Depth=1
	s_delay_alu instid0(SALU_CYCLE_1) | instskip(SKIP_3) | instid1(VALU_DEP_2)
	s_or_b32 exec_lo, exec_lo, s0
	;; [unrolled: 36-line block ×3, first 2 shown]
	v_mul_f32_e32 v2, v21, v3
	v_bfrev_b32_e32 v3, -2
	s_mov_b32 s0, exec_lo
	v_rndne_f32_e32 v24, v2
	v_bfrev_b32_e32 v2, -2
	s_delay_alu instid0(VALU_DEP_2)
	v_cmpx_nle_f32_e32 0x4f000000, v24
	s_cbranch_execz .LBB1_72
; %bb.69:                               ;   in Loop: Header=BB1_12 Depth=1
	v_bfrev_b32_e32 v3, 1
	s_mov_b32 s21, exec_lo
	v_cmpx_nge_f32_e32 0xcf000000, v24
; %bb.70:                               ;   in Loop: Header=BB1_12 Depth=1
	v_cvt_i32_f32_e32 v3, v24
; %bb.71:                               ;   in Loop: Header=BB1_12 Depth=1
	s_or_b32 exec_lo, exec_lo, s21
.LBB1_72:                               ;   in Loop: Header=BB1_12 Depth=1
	s_delay_alu instid0(SALU_CYCLE_1) | instskip(SKIP_2) | instid1(VALU_DEP_1)
	s_or_b32 exec_lo, exec_lo, s0
	v_mul_f32_e32 v4, v21, v4
	s_mov_b32 s0, exec_lo
	v_rndne_f32_e32 v4, v4
	s_delay_alu instid0(VALU_DEP_1)
	v_cmpx_nle_f32_e32 0x4f000000, v4
	s_cbranch_execz .LBB1_11
; %bb.73:                               ;   in Loop: Header=BB1_12 Depth=1
	v_bfrev_b32_e32 v2, 1
	s_mov_b32 s21, exec_lo
	v_cmpx_nge_f32_e32 0xcf000000, v4
	s_cbranch_execz .LBB1_10
; %bb.74:                               ;   in Loop: Header=BB1_12 Depth=1
	v_cvt_i32_f32_e32 v2, v4
	s_branch .LBB1_10
.LBB1_75:
	s_or_b32 exec_lo, exec_lo, s16
	v_lshl_add_u32 v1, s15, 4, v0
	s_mov_b32 s15, exec_lo
	s_delay_alu instid0(VALU_DEP_1)
	v_cmpx_gt_i32_e64 s14, v1
	s_cbranch_execz .LBB1_82
; %bb.76:
	v_ashrrev_i32_e32 v2, 31, v1
	s_lshl_b64 s[16:17], s[10:11], 2
	s_movk_i32 s18, 0xff80
	s_add_u32 s0, s2, s16
	s_addc_u32 s16, s3, s17
	v_lshlrev_b64 v[3:4], 2, v[1:2]
	s_add_u32 s0, s4, s0
	s_addc_u32 s17, s5, s16
	s_lshl_b32 s16, s1, 2
	s_delay_alu instid0(VALU_DEP_1)
	v_add_co_u32 v3, vcc_lo, s0, v3
	s_add_u32 s0, s10, s8
	s_addc_u32 s10, s11, s9
	s_add_u32 s0, s6, s0
	v_add_co_ci_u32_e32 v4, vcc_lo, s17, v4, vcc_lo
	s_addc_u32 s10, s7, s10
	v_add_co_u32 v5, vcc_lo, s0, v1
	v_add_co_ci_u32_e32 v2, vcc_lo, s10, v2, vcc_lo
	s_mov_b32 s17, 0
	s_mov_b64 s[10:11], 0
	s_set_inst_prefetch_distance 0x1
	s_branch .LBB1_79
	.p2align	6
.LBB1_77:                               ;   in Loop: Header=BB1_79 Depth=1
	s_or_b32 exec_lo, exec_lo, s19
.LBB1_78:                               ;   in Loop: Header=BB1_79 Depth=1
	s_delay_alu instid0(SALU_CYCLE_1)
	s_or_b32 exec_lo, exec_lo, s0
	v_add_co_u32 v7, vcc_lo, v5, s10
	s_add_u32 s10, s10, s1
	v_add_nc_u32_e32 v6, s12, v6
	v_add_nc_u32_e32 v9, s10, v1
	v_add_co_ci_u32_e32 v8, vcc_lo, s11, v2, vcc_lo
	v_add_co_u32 v3, s0, v3, s16
	s_delay_alu instid0(VALU_DEP_3)
	v_cmp_le_i32_e32 vcc_lo, s14, v9
	v_med3_i32 v6, v6, s18, 0x7f
	v_add_co_ci_u32_e64 v4, s0, 0, v4, s0
	s_addc_u32 s11, s11, 0
	s_or_b32 s17, vcc_lo, s17
	global_store_b8 v[7:8], v6, off
	s_and_not1_b32 exec_lo, exec_lo, s17
	s_cbranch_execz .LBB1_82
.LBB1_79:                               ; =>This Inner Loop Header: Depth=1
	global_load_b32 v6, v[3:4], off
	s_mov_b32 s0, exec_lo
	s_waitcnt vmcnt(0)
	v_mul_f32_e32 v6, v21, v6
	s_delay_alu instid0(VALU_DEP_1) | instskip(SKIP_1) | instid1(VALU_DEP_2)
	v_rndne_f32_e32 v7, v6
	v_bfrev_b32_e32 v6, -2
	v_cmpx_nle_f32_e32 0x4f000000, v7
	s_cbranch_execz .LBB1_78
; %bb.80:                               ;   in Loop: Header=BB1_79 Depth=1
	v_bfrev_b32_e32 v6, 1
	s_mov_b32 s19, exec_lo
	v_cmpx_nge_f32_e32 0xcf000000, v7
	s_cbranch_execz .LBB1_77
; %bb.81:                               ;   in Loop: Header=BB1_79 Depth=1
	v_cvt_i32_f32_e32 v6, v7
	s_branch .LBB1_77
.LBB1_82:
	s_set_inst_prefetch_distance 0x2
	s_or_b32 exec_lo, exec_lo, s15
	s_mov_b32 s10, 0
.LBB1_83:
	s_delay_alu instid0(SALU_CYCLE_1)
	s_and_b32 vcc_lo, exec_lo, s10
	s_cbranch_vccz .LBB1_151
; %bb.84:
	s_ashr_i32 s10, s13, 4
	s_mov_b32 s0, exec_lo
	v_cmpx_gt_i32_e64 s10, v0
	s_cbranch_execz .LBB1_151
; %bb.85:
	v_lshlrev_b32_e32 v1, 4, v0
	s_add_u32 s0, s6, s8
	s_addc_u32 s6, s7, s9
	s_delay_alu instid0(VALU_DEP_1)
	v_add_co_u32 v17, s0, s0, v1
	v_lshlrev_b32_e32 v1, 6, v0
	v_add_co_ci_u32_e64 v18, null, s6, 0, s0
	s_lshl_b32 s6, s1, 4
	s_add_u32 s0, s4, s2
	s_addc_u32 s2, s5, s3
	v_add_co_u32 v19, s0, s0, v1
	s_delay_alu instid0(VALU_DEP_1)
	v_add_co_ci_u32_e64 v20, null, s2, 0, s0
	s_mov_b32 s2, 0
	s_lshl_b32 s3, s1, 6
	s_movk_i32 s4, 0xff80
	s_branch .LBB1_88
.LBB1_86:                               ;   in Loop: Header=BB1_88 Depth=1
	s_or_b32 exec_lo, exec_lo, s5
.LBB1_87:                               ;   in Loop: Header=BB1_88 Depth=1
	s_delay_alu instid0(SALU_CYCLE_1)
	s_or_b32 exec_lo, exec_lo, s0
	v_add_nc_u32_e32 v3, s12, v3
	v_add_nc_u32_e32 v4, s12, v8
	;; [unrolled: 1-line block ×6, first 2 shown]
	v_med3_i32 v3, v3, s4, 0x7f
	v_med3_i32 v4, v4, s4, 0x7f
	;; [unrolled: 1-line block ×6, first 2 shown]
	v_add_nc_u32_e32 v7, s12, v7
	v_add_nc_u32_e32 v6, s12, v6
	;; [unrolled: 1-line block ×8, first 2 shown]
	v_lshlrev_b16 v4, 8, v4
	v_and_b32_e32 v1, 0xff, v1
	v_lshlrev_b16 v2, 8, v2
	v_and_b32_e32 v3, 0xff, v3
	;; [unrolled: 2-line block ×3, first 2 shown]
	v_add_nc_u32_e32 v13, s12, v13
	v_add_nc_u32_e32 v16, s12, v22
	v_med3_i32 v7, v7, s4, 0x7f
	v_med3_i32 v6, v6, s4, 0x7f
	;; [unrolled: 1-line block ×8, first 2 shown]
	v_or_b32_e32 v1, v1, v4
	v_or_b32_e32 v2, v3, v2
	;; [unrolled: 1-line block ×3, first 2 shown]
	v_med3_i32 v4, v13, s4, 0x7f
	v_med3_i32 v5, v16, s4, 0x7f
	v_lshlrev_b16 v7, 8, v7
	v_and_b32_e32 v6, 0xff, v6
	v_lshlrev_b16 v8, 8, v12
	v_and_b32_e32 v9, 0xff, v9
	;; [unrolled: 2-line block ×5, first 2 shown]
	v_or_b32_e32 v6, v6, v7
	v_or_b32_e32 v7, v9, v8
	;; [unrolled: 1-line block ×5, first 2 shown]
	v_and_b32_e32 v1, 0xffff, v1
	v_lshlrev_b32_e32 v2, 16, v2
	v_and_b32_e32 v3, 0xffff, v3
	v_lshlrev_b32_e32 v6, 16, v6
	;; [unrolled: 2-line block ×4, first 2 shown]
	v_or_b32_e32 v4, v1, v2
	v_or_b32_e32 v3, v3, v6
	;; [unrolled: 1-line block ×3, first 2 shown]
	v_add_nc_u32_e32 v0, s1, v0
	v_or_b32_e32 v1, v9, v5
	v_add_co_u32 v19, s0, v19, s3
	s_delay_alu instid0(VALU_DEP_1)
	v_add_co_ci_u32_e64 v20, s0, 0, v20, s0
	global_store_b128 v[17:18], v[1:4], off
	v_add_co_u32 v17, vcc_lo, v17, s6
	v_add_co_ci_u32_e32 v18, vcc_lo, 0, v18, vcc_lo
	v_cmp_le_i32_e32 vcc_lo, s10, v0
	s_or_b32 s2, vcc_lo, s2
	s_delay_alu instid0(SALU_CYCLE_1)
	s_and_not1_b32 exec_lo, exec_lo, s2
	s_cbranch_execz .LBB1_151
.LBB1_88:                               ; =>This Inner Loop Header: Depth=1
	s_clause 0x3
	global_load_b128 v[13:16], v[19:20], off
	global_load_b128 v[9:12], v[19:20], off offset:16
	global_load_b128 v[1:4], v[19:20], off offset:48
	;; [unrolled: 1-line block ×3, first 2 shown]
	v_bfrev_b32_e32 v22, -2
	s_mov_b32 s0, exec_lo
	s_waitcnt vmcnt(3)
	v_mul_f32_e32 v13, v21, v13
	s_delay_alu instid0(VALU_DEP_1) | instskip(SKIP_1) | instid1(VALU_DEP_2)
	v_rndne_f32_e32 v23, v13
	v_bfrev_b32_e32 v13, -2
	v_cmpx_nle_f32_e32 0x4f000000, v23
	s_cbranch_execz .LBB1_92
; %bb.89:                               ;   in Loop: Header=BB1_88 Depth=1
	v_bfrev_b32_e32 v22, 1
	s_mov_b32 s5, exec_lo
	v_cmpx_nge_f32_e32 0xcf000000, v23
; %bb.90:                               ;   in Loop: Header=BB1_88 Depth=1
	v_cvt_i32_f32_e32 v22, v23
; %bb.91:                               ;   in Loop: Header=BB1_88 Depth=1
	s_or_b32 exec_lo, exec_lo, s5
.LBB1_92:                               ;   in Loop: Header=BB1_88 Depth=1
	s_delay_alu instid0(SALU_CYCLE_1) | instskip(SKIP_2) | instid1(VALU_DEP_1)
	s_or_b32 exec_lo, exec_lo, s0
	v_mul_f32_e32 v14, v21, v14
	s_mov_b32 s0, exec_lo
	v_rndne_f32_e32 v14, v14
	s_delay_alu instid0(VALU_DEP_1)
	v_cmpx_nle_f32_e32 0x4f000000, v14
	s_cbranch_execz .LBB1_96
; %bb.93:                               ;   in Loop: Header=BB1_88 Depth=1
	v_bfrev_b32_e32 v13, 1
	s_mov_b32 s5, exec_lo
	v_cmpx_nge_f32_e32 0xcf000000, v14
; %bb.94:                               ;   in Loop: Header=BB1_88 Depth=1
	v_cvt_i32_f32_e32 v13, v14
; %bb.95:                               ;   in Loop: Header=BB1_88 Depth=1
	s_or_b32 exec_lo, exec_lo, s5
.LBB1_96:                               ;   in Loop: Header=BB1_88 Depth=1
	s_delay_alu instid0(SALU_CYCLE_1) | instskip(SKIP_3) | instid1(VALU_DEP_2)
	s_or_b32 exec_lo, exec_lo, s0
	v_mul_f32_e32 v14, v21, v15
	v_bfrev_b32_e32 v15, -2
	s_mov_b32 s0, exec_lo
	v_rndne_f32_e32 v23, v14
	v_bfrev_b32_e32 v14, -2
	s_delay_alu instid0(VALU_DEP_2)
	v_cmpx_nle_f32_e32 0x4f000000, v23
	s_cbranch_execz .LBB1_100
; %bb.97:                               ;   in Loop: Header=BB1_88 Depth=1
	v_bfrev_b32_e32 v15, 1
	s_mov_b32 s5, exec_lo
	v_cmpx_nge_f32_e32 0xcf000000, v23
; %bb.98:                               ;   in Loop: Header=BB1_88 Depth=1
	v_cvt_i32_f32_e32 v15, v23
; %bb.99:                               ;   in Loop: Header=BB1_88 Depth=1
	s_or_b32 exec_lo, exec_lo, s5
.LBB1_100:                              ;   in Loop: Header=BB1_88 Depth=1
	s_delay_alu instid0(SALU_CYCLE_1) | instskip(SKIP_2) | instid1(VALU_DEP_1)
	s_or_b32 exec_lo, exec_lo, s0
	v_mul_f32_e32 v16, v21, v16
	s_mov_b32 s0, exec_lo
	v_rndne_f32_e32 v16, v16
	s_delay_alu instid0(VALU_DEP_1)
	v_cmpx_nle_f32_e32 0x4f000000, v16
	s_cbranch_execz .LBB1_104
; %bb.101:                              ;   in Loop: Header=BB1_88 Depth=1
	v_bfrev_b32_e32 v14, 1
	s_mov_b32 s5, exec_lo
	v_cmpx_nge_f32_e32 0xcf000000, v16
; %bb.102:                              ;   in Loop: Header=BB1_88 Depth=1
	v_cvt_i32_f32_e32 v14, v16
; %bb.103:                              ;   in Loop: Header=BB1_88 Depth=1
	s_or_b32 exec_lo, exec_lo, s5
.LBB1_104:                              ;   in Loop: Header=BB1_88 Depth=1
	s_delay_alu instid0(SALU_CYCLE_1) | instskip(SKIP_4) | instid1(VALU_DEP_2)
	s_or_b32 exec_lo, exec_lo, s0
	s_waitcnt vmcnt(2)
	v_mul_f32_e32 v9, v21, v9
	v_bfrev_b32_e32 v16, -2
	s_mov_b32 s0, exec_lo
	v_rndne_f32_e32 v23, v9
	v_bfrev_b32_e32 v9, -2
	s_delay_alu instid0(VALU_DEP_2)
	v_cmpx_nle_f32_e32 0x4f000000, v23
	s_cbranch_execz .LBB1_108
; %bb.105:                              ;   in Loop: Header=BB1_88 Depth=1
	v_bfrev_b32_e32 v9, 1
	s_mov_b32 s5, exec_lo
	v_cmpx_nge_f32_e32 0xcf000000, v23
; %bb.106:                              ;   in Loop: Header=BB1_88 Depth=1
	v_cvt_i32_f32_e32 v9, v23
; %bb.107:                              ;   in Loop: Header=BB1_88 Depth=1
	s_or_b32 exec_lo, exec_lo, s5
.LBB1_108:                              ;   in Loop: Header=BB1_88 Depth=1
	s_delay_alu instid0(SALU_CYCLE_1) | instskip(SKIP_2) | instid1(VALU_DEP_1)
	s_or_b32 exec_lo, exec_lo, s0
	v_mul_f32_e32 v10, v21, v10
	s_mov_b32 s0, exec_lo
	v_rndne_f32_e32 v10, v10
	s_delay_alu instid0(VALU_DEP_1)
	v_cmpx_nle_f32_e32 0x4f000000, v10
	s_cbranch_execz .LBB1_112
; %bb.109:                              ;   in Loop: Header=BB1_88 Depth=1
	v_bfrev_b32_e32 v16, 1
	s_mov_b32 s5, exec_lo
	v_cmpx_nge_f32_e32 0xcf000000, v10
; %bb.110:                              ;   in Loop: Header=BB1_88 Depth=1
	v_cvt_i32_f32_e32 v16, v10
; %bb.111:                              ;   in Loop: Header=BB1_88 Depth=1
	s_or_b32 exec_lo, exec_lo, s5
.LBB1_112:                              ;   in Loop: Header=BB1_88 Depth=1
	s_delay_alu instid0(SALU_CYCLE_1) | instskip(SKIP_3) | instid1(VALU_DEP_2)
	s_or_b32 exec_lo, exec_lo, s0
	v_mul_f32_e32 v10, v21, v11
	v_bfrev_b32_e32 v11, -2
	s_mov_b32 s0, exec_lo
	v_rndne_f32_e32 v23, v10
	v_bfrev_b32_e32 v10, -2
	s_delay_alu instid0(VALU_DEP_2)
	v_cmpx_nle_f32_e32 0x4f000000, v23
	s_cbranch_execz .LBB1_116
; %bb.113:                              ;   in Loop: Header=BB1_88 Depth=1
	v_bfrev_b32_e32 v10, 1
	s_mov_b32 s5, exec_lo
	v_cmpx_nge_f32_e32 0xcf000000, v23
; %bb.114:                              ;   in Loop: Header=BB1_88 Depth=1
	v_cvt_i32_f32_e32 v10, v23
; %bb.115:                              ;   in Loop: Header=BB1_88 Depth=1
	s_or_b32 exec_lo, exec_lo, s5
.LBB1_116:                              ;   in Loop: Header=BB1_88 Depth=1
	s_delay_alu instid0(SALU_CYCLE_1) | instskip(SKIP_2) | instid1(VALU_DEP_1)
	s_or_b32 exec_lo, exec_lo, s0
	v_mul_f32_e32 v12, v21, v12
	s_mov_b32 s0, exec_lo
	v_rndne_f32_e32 v12, v12
	s_delay_alu instid0(VALU_DEP_1)
	v_cmpx_nle_f32_e32 0x4f000000, v12
	s_cbranch_execz .LBB1_120
; %bb.117:                              ;   in Loop: Header=BB1_88 Depth=1
	v_bfrev_b32_e32 v11, 1
	s_mov_b32 s5, exec_lo
	v_cmpx_nge_f32_e32 0xcf000000, v12
; %bb.118:                              ;   in Loop: Header=BB1_88 Depth=1
	v_cvt_i32_f32_e32 v11, v12
; %bb.119:                              ;   in Loop: Header=BB1_88 Depth=1
	s_or_b32 exec_lo, exec_lo, s5
.LBB1_120:                              ;   in Loop: Header=BB1_88 Depth=1
	s_delay_alu instid0(SALU_CYCLE_1) | instskip(SKIP_4) | instid1(VALU_DEP_2)
	s_or_b32 exec_lo, exec_lo, s0
	s_waitcnt vmcnt(0)
	v_mul_f32_e32 v5, v21, v5
	v_bfrev_b32_e32 v12, -2
	s_mov_b32 s0, exec_lo
	v_rndne_f32_e32 v23, v5
	v_bfrev_b32_e32 v5, -2
	s_delay_alu instid0(VALU_DEP_2)
	v_cmpx_nle_f32_e32 0x4f000000, v23
	s_cbranch_execz .LBB1_124
; %bb.121:                              ;   in Loop: Header=BB1_88 Depth=1
	v_bfrev_b32_e32 v5, 1
	s_mov_b32 s5, exec_lo
	v_cmpx_nge_f32_e32 0xcf000000, v23
; %bb.122:                              ;   in Loop: Header=BB1_88 Depth=1
	v_cvt_i32_f32_e32 v5, v23
; %bb.123:                              ;   in Loop: Header=BB1_88 Depth=1
	s_or_b32 exec_lo, exec_lo, s5
.LBB1_124:                              ;   in Loop: Header=BB1_88 Depth=1
	s_delay_alu instid0(SALU_CYCLE_1) | instskip(SKIP_2) | instid1(VALU_DEP_1)
	s_or_b32 exec_lo, exec_lo, s0
	v_mul_f32_e32 v6, v21, v6
	s_mov_b32 s0, exec_lo
	v_rndne_f32_e32 v6, v6
	s_delay_alu instid0(VALU_DEP_1)
	v_cmpx_nle_f32_e32 0x4f000000, v6
	s_cbranch_execz .LBB1_128
; %bb.125:                              ;   in Loop: Header=BB1_88 Depth=1
	v_bfrev_b32_e32 v12, 1
	s_mov_b32 s5, exec_lo
	v_cmpx_nge_f32_e32 0xcf000000, v6
; %bb.126:                              ;   in Loop: Header=BB1_88 Depth=1
	v_cvt_i32_f32_e32 v12, v6
; %bb.127:                              ;   in Loop: Header=BB1_88 Depth=1
	s_or_b32 exec_lo, exec_lo, s5
.LBB1_128:                              ;   in Loop: Header=BB1_88 Depth=1
	s_delay_alu instid0(SALU_CYCLE_1) | instskip(SKIP_3) | instid1(VALU_DEP_2)
	s_or_b32 exec_lo, exec_lo, s0
	v_mul_f32_e32 v6, v21, v7
	v_bfrev_b32_e32 v7, -2
	s_mov_b32 s0, exec_lo
	v_rndne_f32_e32 v23, v6
	v_bfrev_b32_e32 v6, -2
	s_delay_alu instid0(VALU_DEP_2)
	v_cmpx_nle_f32_e32 0x4f000000, v23
	s_cbranch_execz .LBB1_132
; %bb.129:                              ;   in Loop: Header=BB1_88 Depth=1
	v_bfrev_b32_e32 v6, 1
	s_mov_b32 s5, exec_lo
	v_cmpx_nge_f32_e32 0xcf000000, v23
; %bb.130:                              ;   in Loop: Header=BB1_88 Depth=1
	v_cvt_i32_f32_e32 v6, v23
; %bb.131:                              ;   in Loop: Header=BB1_88 Depth=1
	s_or_b32 exec_lo, exec_lo, s5
.LBB1_132:                              ;   in Loop: Header=BB1_88 Depth=1
	s_delay_alu instid0(SALU_CYCLE_1) | instskip(SKIP_2) | instid1(VALU_DEP_1)
	s_or_b32 exec_lo, exec_lo, s0
	v_mul_f32_e32 v8, v21, v8
	s_mov_b32 s0, exec_lo
	v_rndne_f32_e32 v8, v8
	s_delay_alu instid0(VALU_DEP_1)
	v_cmpx_nle_f32_e32 0x4f000000, v8
	s_cbranch_execz .LBB1_136
; %bb.133:                              ;   in Loop: Header=BB1_88 Depth=1
	v_bfrev_b32_e32 v7, 1
	s_mov_b32 s5, exec_lo
	v_cmpx_nge_f32_e32 0xcf000000, v8
; %bb.134:                              ;   in Loop: Header=BB1_88 Depth=1
	v_cvt_i32_f32_e32 v7, v8
; %bb.135:                              ;   in Loop: Header=BB1_88 Depth=1
	s_or_b32 exec_lo, exec_lo, s5
.LBB1_136:                              ;   in Loop: Header=BB1_88 Depth=1
	s_delay_alu instid0(SALU_CYCLE_1) | instskip(SKIP_3) | instid1(VALU_DEP_2)
	s_or_b32 exec_lo, exec_lo, s0
	;; [unrolled: 36-line block ×3, first 2 shown]
	v_mul_f32_e32 v2, v21, v3
	v_bfrev_b32_e32 v3, -2
	s_mov_b32 s0, exec_lo
	v_rndne_f32_e32 v23, v2
	v_bfrev_b32_e32 v2, -2
	s_delay_alu instid0(VALU_DEP_2)
	v_cmpx_nle_f32_e32 0x4f000000, v23
	s_cbranch_execz .LBB1_148
; %bb.145:                              ;   in Loop: Header=BB1_88 Depth=1
	v_bfrev_b32_e32 v3, 1
	s_mov_b32 s5, exec_lo
	v_cmpx_nge_f32_e32 0xcf000000, v23
; %bb.146:                              ;   in Loop: Header=BB1_88 Depth=1
	v_cvt_i32_f32_e32 v3, v23
; %bb.147:                              ;   in Loop: Header=BB1_88 Depth=1
	s_or_b32 exec_lo, exec_lo, s5
.LBB1_148:                              ;   in Loop: Header=BB1_88 Depth=1
	s_delay_alu instid0(SALU_CYCLE_1) | instskip(SKIP_2) | instid1(VALU_DEP_1)
	s_or_b32 exec_lo, exec_lo, s0
	v_mul_f32_e32 v4, v21, v4
	s_mov_b32 s0, exec_lo
	v_rndne_f32_e32 v4, v4
	s_delay_alu instid0(VALU_DEP_1)
	v_cmpx_nle_f32_e32 0x4f000000, v4
	s_cbranch_execz .LBB1_87
; %bb.149:                              ;   in Loop: Header=BB1_88 Depth=1
	v_bfrev_b32_e32 v2, 1
	s_mov_b32 s5, exec_lo
	v_cmpx_nge_f32_e32 0xcf000000, v4
	s_cbranch_execz .LBB1_86
; %bb.150:                              ;   in Loop: Header=BB1_88 Depth=1
	v_cvt_i32_f32_e32 v2, v4
	s_branch .LBB1_86
.LBB1_151:
	s_nop 0
	s_sendmsg sendmsg(MSG_DEALLOC_VGPRS)
	s_endpgm
	.section	.rodata,"a",@progbits
	.p2align	6, 0x0
	.amdhsa_kernel _ZN4vllm35static_scaled_int8_azp_quant_kernelIffiEEvPKT_PaPKT0_PKT1_i
		.amdhsa_group_segment_fixed_size 0
		.amdhsa_private_segment_fixed_size 0
		.amdhsa_kernarg_size 296
		.amdhsa_user_sgpr_count 15
		.amdhsa_user_sgpr_dispatch_ptr 0
		.amdhsa_user_sgpr_queue_ptr 0
		.amdhsa_user_sgpr_kernarg_segment_ptr 1
		.amdhsa_user_sgpr_dispatch_id 0
		.amdhsa_user_sgpr_private_segment_size 0
		.amdhsa_wavefront_size32 1
		.amdhsa_uses_dynamic_stack 0
		.amdhsa_enable_private_segment 0
		.amdhsa_system_sgpr_workgroup_id_x 1
		.amdhsa_system_sgpr_workgroup_id_y 0
		.amdhsa_system_sgpr_workgroup_id_z 0
		.amdhsa_system_sgpr_workgroup_info 0
		.amdhsa_system_vgpr_workitem_id 0
		.amdhsa_next_free_vgpr 25
		.amdhsa_next_free_sgpr 22
		.amdhsa_reserve_vcc 1
		.amdhsa_float_round_mode_32 0
		.amdhsa_float_round_mode_16_64 0
		.amdhsa_float_denorm_mode_32 3
		.amdhsa_float_denorm_mode_16_64 3
		.amdhsa_dx10_clamp 1
		.amdhsa_ieee_mode 1
		.amdhsa_fp16_overflow 0
		.amdhsa_workgroup_processor_mode 1
		.amdhsa_memory_ordered 1
		.amdhsa_forward_progress 0
		.amdhsa_shared_vgpr_count 0
		.amdhsa_exception_fp_ieee_invalid_op 0
		.amdhsa_exception_fp_denorm_src 0
		.amdhsa_exception_fp_ieee_div_zero 0
		.amdhsa_exception_fp_ieee_overflow 0
		.amdhsa_exception_fp_ieee_underflow 0
		.amdhsa_exception_fp_ieee_inexact 0
		.amdhsa_exception_int_div_zero 0
	.end_amdhsa_kernel
	.section	.text._ZN4vllm35static_scaled_int8_azp_quant_kernelIffiEEvPKT_PaPKT0_PKT1_i,"axG",@progbits,_ZN4vllm35static_scaled_int8_azp_quant_kernelIffiEEvPKT_PaPKT0_PKT1_i,comdat
.Lfunc_end1:
	.size	_ZN4vllm35static_scaled_int8_azp_quant_kernelIffiEEvPKT_PaPKT0_PKT1_i, .Lfunc_end1-_ZN4vllm35static_scaled_int8_azp_quant_kernelIffiEEvPKT_PaPKT0_PKT1_i
                                        ; -- End function
	.section	.AMDGPU.csdata,"",@progbits
; Kernel info:
; codeLenInByte = 4356
; NumSgprs: 24
; NumVgprs: 25
; ScratchSize: 0
; MemoryBound: 1
; FloatMode: 240
; IeeeMode: 1
; LDSByteSize: 0 bytes/workgroup (compile time only)
; SGPRBlocks: 2
; VGPRBlocks: 3
; NumSGPRsForWavesPerEU: 24
; NumVGPRsForWavesPerEU: 25
; Occupancy: 16
; WaveLimiterHint : 0
; COMPUTE_PGM_RSRC2:SCRATCH_EN: 0
; COMPUTE_PGM_RSRC2:USER_SGPR: 15
; COMPUTE_PGM_RSRC2:TRAP_HANDLER: 0
; COMPUTE_PGM_RSRC2:TGID_X_EN: 1
; COMPUTE_PGM_RSRC2:TGID_Y_EN: 0
; COMPUTE_PGM_RSRC2:TGID_Z_EN: 0
; COMPUTE_PGM_RSRC2:TIDIG_COMP_CNT: 0
	.section	.text._ZN4vllm31static_scaled_int8_quant_kernelIN3c104HalfEfEEvPKT_PaPKT0_i,"axG",@progbits,_ZN4vllm31static_scaled_int8_quant_kernelIN3c104HalfEfEEvPKT_PaPKT0_i,comdat
	.protected	_ZN4vllm31static_scaled_int8_quant_kernelIN3c104HalfEfEEvPKT_PaPKT0_i ; -- Begin function _ZN4vllm31static_scaled_int8_quant_kernelIN3c104HalfEfEEvPKT_PaPKT0_i
	.globl	_ZN4vllm31static_scaled_int8_quant_kernelIN3c104HalfEfEEvPKT_PaPKT0_i
	.p2align	8
	.type	_ZN4vllm31static_scaled_int8_quant_kernelIN3c104HalfEfEEvPKT_PaPKT0_i,@function
_ZN4vllm31static_scaled_int8_quant_kernelIN3c104HalfEfEEvPKT_PaPKT0_i: ; @_ZN4vllm31static_scaled_int8_quant_kernelIN3c104HalfEfEEvPKT_PaPKT0_i
; %bb.0:
	s_clause 0x3
	s_load_b32 s30, s[0:1], 0x18
	s_load_b32 s4, s[0:1], 0x2c
	s_load_b64 s[2:3], s[0:1], 0x10
	s_load_b128 s[16:19], s[0:1], 0x0
	s_mov_b32 s1, 0
	s_waitcnt lgkmcnt(0)
	s_ashr_i32 s0, s30, 31
	s_mul_hi_u32 s5, s30, s15
	s_mul_i32 s0, s0, s15
	s_mul_i32 s22, s30, s15
	s_add_i32 s23, s5, s0
	s_load_b32 s29, s[2:3], 0x0
	s_lshl_b64 s[20:21], s[22:23], 1
	s_and_b32 s28, s4, 0xffff
	s_add_u32 s31, s16, s20
	s_addc_u32 s33, s17, s21
	s_and_b32 s0, s31, 31
	s_delay_alu instid0(SALU_CYCLE_1) | instskip(SKIP_2) | instid1(SALU_CYCLE_1)
	s_cmp_lg_u64 s[0:1], 0
	s_cselect_b32 s0, -1, 0
	s_and_b32 s1, s30, 15
	s_cmp_lg_u32 s1, 0
	s_cselect_b32 s1, -1, 0
	s_delay_alu instid0(SALU_CYCLE_1) | instskip(NEXT) | instid1(SALU_CYCLE_1)
	s_or_b32 s0, s1, s0
	s_and_b32 vcc_lo, exec_lo, s0
	s_mov_b32 s0, -1
	s_cbranch_vccz .LBB2_21
; %bb.1:
	s_add_u32 s26, s18, s22
	s_addc_u32 s27, s19, s23
	s_sub_i32 s0, 0, s31
	v_cvt_f32_u32_e32 v13, s28
	s_bfe_u32 s0, s0, 0x40001
	s_mov_b32 s1, exec_lo
	s_min_i32 s24, s0, s30
	s_delay_alu instid0(SALU_CYCLE_1)
	v_cmpx_gt_i32_e64 s24, v0
	s_cbranch_execz .LBB2_9
; %bb.2:
	v_rcp_iflag_f32_e32 v1, v13
	s_sub_i32 s0, 0, s28
	v_add_nc_u32_e32 v3, s28, v0
	s_cmp_eq_u32 s28, 1
	s_mov_b32 s3, 0
	s_delay_alu instid0(VALU_DEP_1) | instskip(SKIP_3) | instid1(VALU_DEP_1)
	v_cmp_gt_i32_e32 vcc_lo, s24, v3
	v_max_i32_e32 v4, s24, v3
	s_waitcnt_depctr 0xfff
	v_mul_f32_e32 v1, 0x4f7ffffe, v1
	v_cvt_u32_f32_e32 v1, v1
	s_delay_alu instid0(VALU_DEP_1) | instskip(SKIP_1) | instid1(VALU_DEP_1)
	v_mul_lo_u32 v2, s0, v1
	v_add_co_ci_u32_e64 v3, s0, s28, v0, vcc_lo
	v_sub_nc_u32_e32 v3, v4, v3
	s_delay_alu instid0(VALU_DEP_3) | instskip(NEXT) | instid1(VALU_DEP_1)
	v_mul_hi_u32 v2, v1, v2
	v_add_nc_u32_e32 v1, v1, v2
	s_delay_alu instid0(VALU_DEP_1) | instskip(NEXT) | instid1(VALU_DEP_1)
	v_mul_hi_u32 v1, v3, v1
	v_mul_lo_u32 v2, v1, s28
	s_delay_alu instid0(VALU_DEP_1) | instskip(SKIP_1) | instid1(VALU_DEP_2)
	v_sub_nc_u32_e32 v2, v3, v2
	v_add_nc_u32_e32 v3, 1, v1
	v_subrev_nc_u32_e32 v4, s28, v2
	v_cmp_le_u32_e64 s0, s28, v2
	s_delay_alu instid0(VALU_DEP_1) | instskip(NEXT) | instid1(VALU_DEP_3)
	v_cndmask_b32_e64 v1, v1, v3, s0
	v_cndmask_b32_e64 v2, v2, v4, s0
	s_delay_alu instid0(VALU_DEP_2) | instskip(NEXT) | instid1(VALU_DEP_2)
	v_add_nc_u32_e32 v3, 1, v1
	v_cmp_le_u32_e64 s0, s28, v2
	s_delay_alu instid0(VALU_DEP_1) | instskip(SKIP_1) | instid1(VALU_DEP_1)
	v_cndmask_b32_e64 v1, v1, v3, s0
	s_cselect_b32 s0, -1, 0
	v_add_co_ci_u32_e32 v3, vcc_lo, 1, v1, vcc_lo
	v_mov_b32_e32 v1, v0
	s_delay_alu instid0(VALU_DEP_2)
	v_cmp_lt_u32_e32 vcc_lo, 1, v3
	s_and_b32 s4, vcc_lo, s0
	s_mov_b32 s0, -1
	s_and_saveexec_b32 s2, s4
	s_cbranch_execz .LBB2_6
; %bb.3:
	v_dual_mov_b32 v1, v0 :: v_dual_and_b32 v4, -2, v3
	v_mov_b32_e32 v2, 0
	s_waitcnt lgkmcnt(0)
	s_mov_b32 s4, s29
	s_delay_alu instid0(VALU_DEP_2)
	v_mov_b32_e32 v5, v4
.LBB2_4:                                ; =>This Inner Loop Header: Depth=1
	s_delay_alu instid0(VALU_DEP_1) | instskip(NEXT) | instid1(VALU_DEP_2)
	v_lshlrev_b64 v[6:7], 1, v[1:2]
	v_add_nc_u32_e32 v5, -2, v5
	s_delay_alu instid0(VALU_DEP_2) | instskip(NEXT) | instid1(VALU_DEP_3)
	v_add_co_u32 v6, vcc_lo, s31, v6
	v_add_co_ci_u32_e32 v7, vcc_lo, s33, v7, vcc_lo
	global_load_b32 v6, v[6:7], off
	s_waitcnt vmcnt(0)
	v_lshrrev_b32_e32 v7, 16, v6
	v_cvt_f32_f16_e32 v6, v6
	s_delay_alu instid0(VALU_DEP_2) | instskip(NEXT) | instid1(VALU_DEP_2)
	v_cvt_f32_f16_e32 v7, v7
	v_div_scale_f32 v8, null, s29, s29, v6
	v_div_scale_f32 v15, vcc_lo, v6, s29, v6
	s_delay_alu instid0(VALU_DEP_3) | instskip(NEXT) | instid1(VALU_DEP_3)
	v_div_scale_f32 v9, null, s4, s4, v7
	v_rcp_f32_e32 v10, v8
	s_delay_alu instid0(VALU_DEP_1) | instskip(SKIP_3) | instid1(VALU_DEP_2)
	v_rcp_f32_e32 v11, v9
	s_waitcnt_depctr 0xfff
	v_fma_f32 v12, -v8, v10, 1.0
	v_fma_f32 v14, -v9, v11, 1.0
	v_fmac_f32_e32 v10, v12, v10
	v_div_scale_f32 v12, s0, v7, s4, v7
	s_delay_alu instid0(VALU_DEP_2) | instskip(NEXT) | instid1(VALU_DEP_1)
	v_dual_fmac_f32 v11, v14, v11 :: v_dual_mul_f32 v14, v15, v10
	v_mul_f32_e32 v16, v12, v11
	s_delay_alu instid0(VALU_DEP_2) | instskip(NEXT) | instid1(VALU_DEP_2)
	v_fma_f32 v17, -v8, v14, v15
	v_fma_f32 v18, -v9, v16, v12
	s_delay_alu instid0(VALU_DEP_2) | instskip(NEXT) | instid1(VALU_DEP_2)
	v_fmac_f32_e32 v14, v17, v10
	v_fmac_f32_e32 v16, v18, v11
	s_delay_alu instid0(VALU_DEP_2) | instskip(NEXT) | instid1(VALU_DEP_2)
	v_fma_f32 v8, -v8, v14, v15
	v_fma_f32 v9, -v9, v16, v12
	s_delay_alu instid0(VALU_DEP_2) | instskip(SKIP_1) | instid1(VALU_DEP_2)
	v_div_fmas_f32 v8, v8, v10, v14
	s_mov_b32 vcc_lo, s0
	v_div_fmas_f32 v9, v9, v11, v16
	s_delay_alu instid0(VALU_DEP_2) | instskip(NEXT) | instid1(VALU_DEP_2)
	v_div_fixup_f32 v6, v8, s29, v6
	v_div_fixup_f32 v7, v9, s4, v7
	s_delay_alu instid0(VALU_DEP_2) | instskip(NEXT) | instid1(VALU_DEP_2)
	v_rndne_f32_e32 v6, v6
	v_rndne_f32_e32 v7, v7
	s_delay_alu instid0(VALU_DEP_2) | instskip(SKIP_1) | instid1(VALU_DEP_3)
	v_cmp_nlt_f32_e32 vcc_lo, 0x42fe0000, v6
	v_cndmask_b32_e32 v8, 0x42fe0000, v6, vcc_lo
	v_cmp_nlt_f32_e32 vcc_lo, 0x42fe0000, v7
	v_cndmask_b32_e32 v9, 0x42fe0000, v7, vcc_lo
	v_cmp_ngt_f32_e32 vcc_lo, 0xc3000000, v6
	s_delay_alu instid0(VALU_DEP_4) | instskip(SKIP_1) | instid1(VALU_DEP_2)
	v_cndmask_b32_e32 v6, 0xc3000000, v8, vcc_lo
	v_cmp_ngt_f32_e32 vcc_lo, 0xc3000000, v7
	v_cvt_i32_f32_e32 v6, v6
	v_cndmask_b32_e32 v7, 0xc3000000, v9, vcc_lo
	v_cmp_eq_u32_e32 vcc_lo, 0, v5
	s_delay_alu instid0(VALU_DEP_3) | instskip(NEXT) | instid1(VALU_DEP_3)
	v_and_b32_e32 v6, 0xff, v6
	v_cvt_i32_f32_e32 v7, v7
	s_or_b32 s3, vcc_lo, s3
	s_delay_alu instid0(VALU_DEP_1) | instskip(NEXT) | instid1(VALU_DEP_1)
	v_lshlrev_b16 v7, 8, v7
	v_or_b32_e32 v6, v6, v7
	global_store_b16 v1, v6, s[26:27]
	v_add_nc_u32_e32 v1, 2, v1
	s_and_not1_b32 exec_lo, exec_lo, s3
	s_cbranch_execnz .LBB2_4
; %bb.5:
	s_or_b32 exec_lo, exec_lo, s3
	v_cmp_ne_u32_e32 vcc_lo, v3, v4
	v_add_nc_u32_e32 v1, v0, v4
	s_or_not1_b32 s0, vcc_lo, exec_lo
.LBB2_6:
	s_or_b32 exec_lo, exec_lo, s2
	s_delay_alu instid0(SALU_CYCLE_1)
	s_and_b32 exec_lo, exec_lo, s0
	s_cbranch_execz .LBB2_9
; %bb.7:
	v_mov_b32_e32 v2, 0
	s_add_u32 s0, s16, s20
	s_addc_u32 s2, s17, s21
	s_lshl_b32 s3, s28, 1
	s_delay_alu instid0(VALU_DEP_1) | instskip(NEXT) | instid1(VALU_DEP_1)
	v_lshlrev_b64 v[3:4], 1, v[1:2]
	v_add_co_u32 v3, vcc_lo, s0, v3
	s_delay_alu instid0(VALU_DEP_2)
	v_add_co_ci_u32_e32 v4, vcc_lo, s2, v4, vcc_lo
	s_mov_b32 s2, 0
.LBB2_8:                                ; =>This Inner Loop Header: Depth=1
	global_load_u16 v5, v[3:4], off
	s_waitcnt vmcnt(0)
	v_cvt_f32_f16_e32 v6, v5
	s_waitcnt lgkmcnt(0)
	s_delay_alu instid0(VALU_DEP_1) | instskip(SKIP_1) | instid1(VALU_DEP_2)
	v_div_scale_f32 v5, null, s29, s29, v6
	v_div_scale_f32 v9, vcc_lo, v6, s29, v6
	v_rcp_f32_e32 v7, v5
	s_waitcnt_depctr 0xfff
	v_fma_f32 v8, -v5, v7, 1.0
	s_delay_alu instid0(VALU_DEP_1) | instskip(NEXT) | instid1(VALU_DEP_1)
	v_fmac_f32_e32 v7, v8, v7
	v_mul_f32_e32 v8, v9, v7
	s_delay_alu instid0(VALU_DEP_1) | instskip(NEXT) | instid1(VALU_DEP_1)
	v_fma_f32 v10, -v5, v8, v9
	v_fmac_f32_e32 v8, v10, v7
	s_delay_alu instid0(VALU_DEP_1) | instskip(NEXT) | instid1(VALU_DEP_1)
	v_fma_f32 v5, -v5, v8, v9
	v_div_fmas_f32 v7, v5, v7, v8
	v_add_co_u32 v5, vcc_lo, s26, v1
	s_delay_alu instid0(VALU_DEP_2) | instskip(SKIP_2) | instid1(VALU_DEP_3)
	v_div_fixup_f32 v7, v7, s29, v6
	v_add_co_ci_u32_e32 v6, vcc_lo, s27, v2, vcc_lo
	v_add_co_u32 v1, vcc_lo, v1, s28
	v_rndne_f32_e32 v7, v7
	v_add_co_ci_u32_e32 v2, vcc_lo, 0, v2, vcc_lo
	s_delay_alu instid0(VALU_DEP_2) | instskip(SKIP_1) | instid1(VALU_DEP_2)
	v_cmp_nlt_f32_e64 s0, 0x42fe0000, v7
	v_cmp_ngt_f32_e32 vcc_lo, 0xc3000000, v7
	v_cndmask_b32_e64 v8, 0x42fe0000, v7, s0
	v_cmp_le_i32_e64 s0, s24, v1
	s_delay_alu instid0(VALU_DEP_2) | instskip(SKIP_2) | instid1(VALU_DEP_3)
	v_cndmask_b32_e32 v7, 0xc3000000, v8, vcc_lo
	v_add_co_u32 v3, vcc_lo, v3, s3
	v_add_co_ci_u32_e32 v4, vcc_lo, 0, v4, vcc_lo
	v_cvt_i32_f32_e32 v7, v7
	s_or_b32 s2, s0, s2
	global_store_b8 v[5:6], v7, off
	s_and_not1_b32 exec_lo, exec_lo, s2
	s_cbranch_execnz .LBB2_8
.LBB2_9:
	s_or_b32 exec_lo, exec_lo, s1
	s_sub_i32 s34, s30, s24
	s_ashr_i32 s25, s24, 31
	s_ashr_i32 s0, s34, 31
	s_mov_b32 s36, exec_lo
	s_lshr_b32 s0, s0, 28
	s_delay_alu instid0(SALU_CYCLE_1) | instskip(NEXT) | instid1(SALU_CYCLE_1)
	s_add_i32 s0, s34, s0
	s_ashr_i32 s35, s0, 4
	s_delay_alu instid0(SALU_CYCLE_1)
	v_cmpx_gt_i32_e64 s35, v0
	s_cbranch_execz .LBB2_12
; %bb.10:
	v_dual_mov_b32 v14, v0 :: v_dual_lshlrev_b32 v1, 4, v0
	s_add_u32 s0, s24, s22
	s_addc_u32 s1, s25, s23
	s_add_u32 s0, s18, s0
	s_addc_u32 s1, s19, s1
	v_add_co_u32 v9, s0, s0, v1
	s_delay_alu instid0(VALU_DEP_1)
	v_add_co_ci_u32_e64 v10, null, s1, 0, s0
	s_lshl_b64 s[0:1], s[24:25], 1
	s_lshl_b32 s37, s28, 4
	v_lshlrev_b32_e32 v1, 5, v0
	s_add_u32 s0, s16, s0
	s_addc_u32 s1, s17, s1
	s_add_u32 s0, s0, s20
	s_addc_u32 s1, s1, s21
	v_add_co_u32 v11, s0, s0, v1
	s_delay_alu instid0(VALU_DEP_1)
	v_add_co_ci_u32_e64 v12, null, s1, 0, s0
	s_mov_b32 s38, 0
	s_lshl_b32 s39, s28, 5
.LBB2_11:                               ; =>This Inner Loop Header: Depth=1
	s_clause 0x1
	global_load_b128 v[1:4], v[11:12], off
	global_load_b128 v[5:8], v[11:12], off offset:16
	v_add_co_u32 v11, vcc_lo, v11, s39
	v_add_co_ci_u32_e32 v12, vcc_lo, 0, v12, vcc_lo
	s_waitcnt vmcnt(1)
	v_lshrrev_b32_e32 v15, 16, v1
	v_cvt_f32_f16_e32 v1, v1
	v_lshrrev_b32_e32 v16, 16, v2
	v_cvt_f32_f16_e32 v2, v2
	s_waitcnt vmcnt(0)
	v_lshrrev_b32_e32 v20, 16, v6
	v_lshrrev_b32_e32 v21, 16, v7
	;; [unrolled: 1-line block ×3, first 2 shown]
	v_cvt_f32_f16_e32 v6, v6
	v_cvt_f32_f16_e32 v7, v7
	;; [unrolled: 1-line block ×3, first 2 shown]
	s_waitcnt lgkmcnt(0)
	v_div_scale_f32 v23, null, s29, s29, v1
	v_lshrrev_b32_e32 v17, 16, v3
	v_cvt_f32_f16_e32 v3, v3
	v_cvt_f32_f16_e32 v15, v15
	v_div_scale_f32 v25, null, s29, s29, v2
	v_lshrrev_b32_e32 v18, 16, v4
	v_cvt_f32_f16_e32 v4, v4
	v_cvt_f32_f16_e32 v16, v16
	v_div_scale_f32 v33, null, s29, s29, v6
	v_div_scale_f32 v35, null, s29, s29, v7
	v_cvt_f32_f16_e32 v21, v21
	v_div_scale_f32 v37, null, s29, s29, v8
	v_cvt_f32_f16_e32 v22, v22
	v_rcp_f32_e32 v39, v23
	v_lshrrev_b32_e32 v19, 16, v5
	v_cvt_f32_f16_e32 v5, v5
	v_div_scale_f32 v27, null, s29, s29, v3
	v_cvt_f32_f16_e32 v17, v17
	v_div_scale_f32 v40, null, s29, s29, v15
	v_rcp_f32_e32 v42, v25
	v_div_scale_f32 v29, null, s29, s29, v4
	v_div_scale_f32 v43, null, s29, s29, v16
	v_rcp_f32_e32 v54, v33
	v_rcp_f32_e32 v57, v35
	v_div_scale_f32 v58, null, s29, s29, v21
	v_rcp_f32_e32 v60, v37
	v_div_scale_f32 v61, null, s29, s29, v22
	v_cvt_f32_f16_e32 v18, v18
	v_div_scale_f32 v31, null, s29, s29, v5
	v_rcp_f32_e32 v45, v27
	v_div_scale_f32 v46, null, s29, s29, v17
	v_rcp_f32_e32 v63, v40
	v_cvt_f32_f16_e32 v19, v19
	v_rcp_f32_e32 v48, v29
	v_rcp_f32_e32 v64, v43
	;; [unrolled: 1-line block ×4, first 2 shown]
	v_fma_f32 v71, -v23, v39, 1.0
	v_div_scale_f32 v49, null, s29, s29, v18
	v_rcp_f32_e32 v51, v31
	v_rcp_f32_e32 v65, v46
	v_fma_f32 v72, -v25, v42, 1.0
	v_dual_fmac_f32 v39, v71, v39 :: v_dual_add_nc_u32 v14, s28, v14
	v_div_scale_f32 v24, vcc_lo, v1, s29, v1
	v_cvt_f32_f16_e32 v20, v20
	v_div_scale_f32 v52, null, s29, s29, v19
	v_fma_f32 v76, -v33, v54, 1.0
	v_fma_f32 v77, -v35, v57, 1.0
	v_fma_f32 v78, -v37, v60, 1.0
	v_rcp_f32_e32 v66, v49
	v_fma_f32 v73, -v27, v45, 1.0
	v_div_scale_f32 v26, s1, v2, s29, v2
	v_fma_f32 v71, -v40, v63, 1.0
	s_delay_alu instid0(VALU_DEP_3)
	v_dual_fmac_f32 v42, v72, v42 :: v_dual_fmac_f32 v45, v73, v45
	v_div_scale_f32 v55, null, s29, s29, v20
	v_rcp_f32_e32 v67, v52
	v_fma_f32 v74, -v29, v48, 1.0
	v_fma_f32 v72, -v43, v64, 1.0
	v_dual_fmac_f32 v54, v76, v54 :: v_dual_fmac_f32 v57, v77, v57
	v_fma_f32 v77, -v58, v69, 1.0
	v_dual_fmac_f32 v60, v78, v60 :: v_dual_mul_f32 v79, v24, v39
	v_fma_f32 v78, -v61, v70, 1.0
	v_div_scale_f32 v28, s2, v3, s29, v3
	v_fma_f32 v75, -v31, v51, 1.0
	v_div_scale_f32 v38, s7, v8, s29, v8
	v_div_scale_f32 v41, s8, v15, s29, v15
	v_fma_f32 v73, -v46, v65, 1.0
	v_dual_fmac_f32 v63, v71, v63 :: v_dual_fmac_f32 v64, v72, v64
	v_dual_mul_f32 v71, v26, v42 :: v_dual_mul_f32 v72, v28, v45
	v_div_scale_f32 v30, s3, v4, s29, v4
	v_div_scale_f32 v44, s9, v16, s29, v16
	v_rcp_f32_e32 v68, v55
	v_dual_fmac_f32 v48, v74, v48 :: v_dual_fmac_f32 v51, v75, v51
	v_dual_fmac_f32 v69, v77, v69 :: v_dual_fmac_f32 v70, v78, v70
	v_fma_f32 v78, -v23, v79, v24
	v_div_scale_f32 v32, s4, v5, s29, v5
	v_fma_f32 v74, -v49, v66, 1.0
	v_div_scale_f32 v47, s10, v17, s29, v17
	v_div_scale_f32 v62, s15, v22, s29, v22
	s_delay_alu instid0(VALU_DEP_3)
	v_dual_fmac_f32 v65, v73, v65 :: v_dual_fmac_f32 v66, v74, v66
	v_dual_mul_f32 v77, v38, v60 :: v_dual_mul_f32 v80, v41, v63
	v_fma_f32 v81, -v25, v71, v26
	v_div_scale_f32 v34, s5, v6, s29, v6
	v_fma_f32 v75, -v52, v67, 1.0
	v_dual_mul_f32 v73, v30, v48 :: v_dual_mul_f32 v74, v32, v51
	v_dual_mul_f32 v82, v44, v64 :: v_dual_fmac_f32 v79, v78, v39
	v_fma_f32 v83, -v27, v72, v28
	v_dual_mul_f32 v84, v47, v65 :: v_dual_fmac_f32 v71, v81, v42
	v_mul_f32_e32 v78, v62, v70
	v_fma_f32 v81, -v40, v80, v41
	v_div_scale_f32 v36, s6, v7, s29, v7
	v_div_scale_f32 v50, s11, v18, s29, v18
	v_fma_f32 v76, -v55, v68, 1.0
	v_fmac_f32_e32 v67, v75, v67
	v_mul_f32_e32 v75, v34, v54
	v_fma_f32 v85, -v29, v73, v30
	v_fma_f32 v23, -v23, v79, v24
	;; [unrolled: 1-line block ×3, first 2 shown]
	v_fmac_f32_e32 v72, v83, v45
	v_fma_f32 v83, -v43, v82, v44
	v_fma_f32 v24, -v61, v78, v62
	v_fmac_f32_e32 v80, v81, v63
	v_div_scale_f32 v56, s13, v20, s29, v20
	v_fmac_f32_e32 v68, v76, v68
	v_mul_f32_e32 v76, v36, v57
	v_dual_mul_f32 v86, v50, v66 :: v_dual_fmac_f32 v73, v85, v48
	v_fma_f32 v89, -v33, v75, v34
	v_fma_f32 v85, -v46, v84, v47
	v_div_fmas_f32 v23, v23, v39, v79
	v_fmac_f32_e32 v74, v87, v51
	v_fmac_f32_e32 v82, v83, v64
	;; [unrolled: 1-line block ×3, first 2 shown]
	v_fma_f32 v24, -v40, v80, v41
	v_fma_f32 v25, -v25, v71, v26
	v_dual_mul_f32 v90, v56, v68 :: v_dual_fmac_f32 v75, v89, v54
	v_fmac_f32_e32 v84, v85, v65
	v_div_fixup_f32 v1, v23, s29, v1
	s_mov_b32 vcc_lo, s8
	v_fma_f32 v26, -v27, v72, v28
	v_fma_f32 v28, -v31, v74, v32
	;; [unrolled: 1-line block ×3, first 2 shown]
	v_div_fmas_f32 v23, v24, v63, v80
	s_mov_b32 vcc_lo, s1
	v_div_scale_f32 v53, s12, v19, s29, v19
	v_div_fmas_f32 v24, v25, v42, v71
	s_mov_b32 vcc_lo, s9
	v_fma_f32 v27, -v29, v73, v30
	v_fma_f32 v29, -v33, v75, v34
	;; [unrolled: 1-line block ×3, first 2 shown]
	v_rndne_f32_e32 v1, v1
	v_fma_f32 v87, -v49, v86, v50
	v_div_fmas_f32 v25, v32, v64, v82
	s_mov_b32 vcc_lo, s2
	v_div_fixup_f32 v15, v23, s29, v15
	v_div_fmas_f32 v23, v26, v45, v72
	s_mov_b32 vcc_lo, s10
	v_div_fixup_f32 v2, v24, s29, v2
	v_div_fmas_f32 v24, v33, v65, v84
	v_cmp_nlt_f32_e32 vcc_lo, 0x42fe0000, v1
	v_mul_f32_e32 v88, v53, v67
	v_fmac_f32_e32 v86, v87, v66
	v_fma_f32 v91, -v35, v76, v36
	v_div_fixup_f32 v16, v25, s29, v16
	v_cndmask_b32_e32 v25, 0x42fe0000, v1, vcc_lo
	v_fma_f32 v89, -v52, v88, v53
	v_fma_f32 v34, -v49, v86, v50
	s_mov_b32 vcc_lo, s3
	v_rndne_f32_e32 v15, v15
	v_div_fmas_f32 v26, v27, v48, v73
	s_mov_b32 vcc_lo, s11
	v_fmac_f32_e32 v76, v91, v57
	v_fmac_f32_e32 v88, v89, v67
	v_cmp_ngt_f32_e64 s1, 0xc3000000, v1
	v_div_fixup_f32 v1, v23, s29, v3
	v_div_fmas_f32 v3, v34, v66, v86
	s_mov_b32 vcc_lo, s4
	v_fma_f32 v30, -v35, v76, v36
	v_div_fmas_f32 v23, v28, v51, v74
	v_cmp_nlt_f32_e32 vcc_lo, 0x42fe0000, v15
	v_fma_f32 v35, -v52, v88, v53
	v_rndne_f32_e32 v2, v2
	v_div_fixup_f32 v17, v24, s29, v17
	v_cndmask_b32_e64 v24, 0xc3000000, v25, s1
	v_cndmask_b32_e32 v25, 0x42fe0000, v15, vcc_lo
	s_mov_b32 vcc_lo, s12
	v_fma_f32 v91, -v55, v90, v56
	v_cmp_ngt_f32_e64 s1, 0xc3000000, v15
	v_div_fmas_f32 v15, v35, v67, v88
	v_cmp_nlt_f32_e32 vcc_lo, 0x42fe0000, v2
	v_rndne_f32_e32 v16, v16
	v_div_scale_f32 v59, s14, v21, s29, v21
	v_fmac_f32_e32 v90, v91, v68
	v_div_fixup_f32 v4, v26, s29, v4
	v_cndmask_b32_e32 v26, 0x42fe0000, v2, vcc_lo
	s_mov_b32 vcc_lo, s5
	v_cmp_ngt_f32_e64 s2, 0xc3000000, v2
	v_div_fixup_f32 v2, v3, s29, v18
	v_rndne_f32_e32 v3, v17
	v_div_fmas_f32 v17, v29, v54, v75
	v_cmp_nlt_f32_e32 vcc_lo, 0x42fe0000, v16
	v_fma_f32 v93, -v37, v77, v38
	v_mul_f32_e32 v92, v59, v69
	v_fma_f32 v36, -v55, v90, v56
	v_rndne_f32_e32 v1, v1
	v_cndmask_b32_e32 v18, 0x42fe0000, v16, vcc_lo
	v_fmac_f32_e32 v77, v93, v60
	s_mov_b32 vcc_lo, s13
	v_fma_f32 v93, -v58, v92, v59
	v_cmp_ngt_f32_e64 s3, 0xc3000000, v16
	v_cvt_i32_f32_e32 v16, v24
	v_div_fmas_f32 v24, v36, v68, v90
	v_cmp_nlt_f32_e32 vcc_lo, 0x42fe0000, v1
	v_fmac_f32_e32 v92, v93, v69
	v_div_fixup_f32 v5, v23, s29, v5
	v_cndmask_b32_e64 v23, 0xc3000000, v25, s1
	v_cmp_ngt_f32_e64 s1, 0xc3000000, v1
	v_cndmask_b32_e32 v25, 0x42fe0000, v1, vcc_lo
	s_mov_b32 vcc_lo, s6
	v_div_fixup_f32 v1, v15, s29, v19
	v_div_fmas_f32 v19, v30, v57, v76
	v_cmp_nlt_f32_e32 vcc_lo, 0x42fe0000, v3
	v_fma_f32 v31, -v37, v77, v38
	v_fma_f32 v37, -v58, v92, v59
	v_rndne_f32_e32 v4, v4
	v_cndmask_b32_e64 v15, 0xc3000000, v26, s2
	v_cndmask_b32_e32 v26, 0x42fe0000, v3, vcc_lo
	s_mov_b32 vcc_lo, s14
	v_cmp_ngt_f32_e64 s2, 0xc3000000, v3
	v_div_fixup_f32 v3, v17, s29, v6
	v_div_fmas_f32 v17, v37, v69, v92
	v_cmp_nlt_f32_e32 vcc_lo, 0x42fe0000, v4
	v_rndne_f32_e32 v2, v2
	v_cndmask_b32_e64 v6, 0xc3000000, v18, s3
	v_cvt_i32_f32_e32 v18, v23
	v_cmp_ngt_f32_e64 s3, 0xc3000000, v4
	v_cndmask_b32_e32 v23, 0x42fe0000, v4, vcc_lo
	s_mov_b32 vcc_lo, s7
	v_div_fixup_f32 v4, v24, s29, v20
	v_div_fmas_f32 v24, v31, v60, v77
	v_cmp_nlt_f32_e32 vcc_lo, 0x42fe0000, v2
	v_fma_f32 v38, -v61, v78, v62
	v_rndne_f32_e32 v5, v5
	v_rndne_f32_e32 v1, v1
	v_cndmask_b32_e64 v20, 0xc3000000, v25, s1
	v_cndmask_b32_e32 v25, 0x42fe0000, v2, vcc_lo
	s_mov_b32 vcc_lo, s15
	v_cmp_ngt_f32_e64 s1, 0xc3000000, v2
	v_div_fixup_f32 v2, v19, s29, v7
	v_cndmask_b32_e64 v7, 0xc3000000, v26, s2
	v_rndne_f32_e32 v3, v3
	v_div_fmas_f32 v19, v38, v70, v78
	v_cmp_nlt_f32_e32 vcc_lo, 0x42fe0000, v5
	v_cmp_nlt_f32_e64 s2, 0x42fe0000, v1
	v_rndne_f32_e32 v4, v4
	v_and_b32_e32 v16, 0xff, v16
	v_lshlrev_b16 v18, 8, v18
	v_cndmask_b32_e32 v26, 0x42fe0000, v5, vcc_lo
	v_cmp_ngt_f32_e32 vcc_lo, 0xc3000000, v5
	v_div_fixup_f32 v5, v17, s29, v21
	v_cndmask_b32_e64 v21, 0x42fe0000, v1, s2
	v_cmp_ngt_f32_e64 s2, 0xc3000000, v1
	v_div_fixup_f32 v1, v24, s29, v8
	v_cndmask_b32_e64 v8, 0xc3000000, v25, s1
	v_cmp_nlt_f32_e64 s1, 0x42fe0000, v3
	v_cndmask_b32_e64 v17, 0xc3000000, v23, s3
	v_rndne_f32_e32 v2, v2
	v_cvt_i32_f32_e32 v15, v15
	v_cvt_i32_f32_e32 v6, v6
	v_cndmask_b32_e64 v23, 0x42fe0000, v3, s1
	v_cmp_ngt_f32_e64 s1, 0xc3000000, v3
	v_div_fixup_f32 v3, v19, s29, v22
	v_cndmask_b32_e32 v19, 0xc3000000, v26, vcc_lo
	v_cmp_nlt_f32_e32 vcc_lo, 0x42fe0000, v4
	v_cvt_i32_f32_e32 v20, v20
	v_rndne_f32_e32 v5, v5
	v_and_b32_e32 v15, 0xff, v15
	v_lshlrev_b16 v6, 8, v6
	v_cndmask_b32_e32 v22, 0x42fe0000, v4, vcc_lo
	v_cmp_ngt_f32_e32 vcc_lo, 0xc3000000, v4
	v_or_b32_e32 v4, v16, v18
	v_cndmask_b32_e64 v16, 0xc3000000, v21, s2
	v_cmp_nlt_f32_e64 s2, 0x42fe0000, v2
	v_rndne_f32_e32 v1, v1
	v_and_b32_e32 v18, 0xff, v20
	v_cvt_i32_f32_e32 v17, v17
	v_rndne_f32_e32 v3, v3
	v_cndmask_b32_e64 v20, 0x42fe0000, v2, s2
	v_cmp_ngt_f32_e64 s2, 0xc3000000, v2
	v_cndmask_b32_e64 v2, 0xc3000000, v23, s1
	v_cmp_nlt_f32_e64 s1, 0x42fe0000, v5
	v_cvt_i32_f32_e32 v7, v7
	v_cvt_i32_f32_e32 v8, v8
	;; [unrolled: 1-line block ×3, first 2 shown]
	v_and_b32_e32 v4, 0xffff, v4
	v_cndmask_b32_e64 v21, 0x42fe0000, v5, s1
	v_cmp_ngt_f32_e64 s1, 0xc3000000, v5
	v_or_b32_e32 v5, v15, v6
	v_cndmask_b32_e32 v6, 0xc3000000, v22, vcc_lo
	v_cmp_nlt_f32_e32 vcc_lo, 0x42fe0000, v1
	v_and_b32_e32 v15, 0xff, v17
	v_lshlrev_b16 v7, 8, v7
	v_lshlrev_b16 v8, 8, v8
	v_cvt_i32_f32_e32 v16, v16
	v_cndmask_b32_e32 v17, 0x42fe0000, v1, vcc_lo
	v_cmp_ngt_f32_e32 vcc_lo, 0xc3000000, v1
	v_cndmask_b32_e64 v1, 0xc3000000, v20, s2
	v_cmp_nlt_f32_e64 s2, 0x42fe0000, v3
	v_cvt_i32_f32_e32 v2, v2
	v_lshlrev_b32_e32 v5, 16, v5
	v_cvt_i32_f32_e32 v6, v6
	v_cndmask_b32_e32 v17, 0xc3000000, v17, vcc_lo
	v_cndmask_b32_e64 v20, 0x42fe0000, v3, s2
	v_cmp_ngt_f32_e64 s2, 0xc3000000, v3
	v_or_b32_e32 v3, v18, v7
	v_cndmask_b32_e64 v7, 0xc3000000, v21, s1
	v_or_b32_e32 v8, v15, v8
	v_and_b32_e32 v18, 0xff, v19
	v_cndmask_b32_e64 v15, 0xc3000000, v20, s2
	v_lshlrev_b16 v16, 8, v16
	v_cvt_i32_f32_e32 v19, v1
	v_and_b32_e32 v2, 0xff, v2
	v_and_b32_e32 v3, 0xffff, v3
	v_cvt_i32_f32_e32 v7, v7
	v_or_b32_e32 v1, v4, v5
	v_lshlrev_b16 v4, 8, v6
	v_cvt_i32_f32_e32 v5, v17
	v_lshlrev_b32_e32 v8, 16, v8
	v_cvt_i32_f32_e32 v15, v15
	v_or_b32_e32 v6, v18, v16
	v_and_b32_e32 v16, 0xff, v19
	v_lshlrev_b16 v7, 8, v7
	v_or_b32_e32 v4, v2, v4
	v_and_b32_e32 v5, 0xff, v5
	v_or_b32_e32 v2, v3, v8
	v_lshlrev_b16 v3, 8, v15
	v_and_b32_e32 v6, 0xffff, v6
	v_or_b32_e32 v7, v16, v7
	v_lshlrev_b32_e32 v4, 16, v4
	v_cmp_le_i32_e64 s0, s35, v14
	v_or_b32_e32 v5, v5, v3
	s_delay_alu instid0(VALU_DEP_4) | instskip(NEXT) | instid1(VALU_DEP_4)
	v_and_b32_e32 v7, 0xffff, v7
	v_or_b32_e32 v3, v6, v4
	s_delay_alu instid0(VALU_DEP_4) | instskip(NEXT) | instid1(VALU_DEP_3)
	s_or_b32 s38, s0, s38
	v_lshlrev_b32_e32 v4, 16, v5
	s_delay_alu instid0(VALU_DEP_1)
	v_or_b32_e32 v4, v7, v4
	global_store_b128 v[9:10], v[1:4], off
	v_add_co_u32 v9, vcc_lo, v9, s37
	v_add_co_ci_u32_e32 v10, vcc_lo, 0, v10, vcc_lo
	s_and_not1_b32 exec_lo, exec_lo, s38
	s_cbranch_execnz .LBB2_11
.LBB2_12:
	s_or_b32 exec_lo, exec_lo, s36
	v_lshl_add_u32 v1, s35, 4, v0
	s_mov_b32 s1, exec_lo
	s_delay_alu instid0(VALU_DEP_1)
	v_cmpx_gt_i32_e64 s34, v1
	s_cbranch_execz .LBB2_20
; %bb.13:
	v_rcp_iflag_f32_e32 v2, v13
	s_add_u32 s2, s26, s24
	s_addc_u32 s3, s27, s25
	s_sub_i32 s0, 0, s28
	v_add_nc_u32_e32 v4, s28, v1
	s_cmp_eq_u32 s28, 1
	s_mov_b32 s5, 0
	s_delay_alu instid0(VALU_DEP_1) | instskip(SKIP_3) | instid1(VALU_DEP_2)
	v_cmp_gt_i32_e32 vcc_lo, s34, v4
	s_waitcnt_depctr 0xfff
	v_mul_f32_e32 v2, 0x4f7ffffe, v2
	v_max_i32_e32 v5, s34, v4
	v_cvt_u32_f32_e32 v2, v2
	s_delay_alu instid0(VALU_DEP_1) | instskip(SKIP_1) | instid1(VALU_DEP_1)
	v_mul_lo_u32 v3, s0, v2
	v_add_co_ci_u32_e64 v4, s0, s28, v1, vcc_lo
	v_sub_nc_u32_e32 v4, v5, v4
	s_delay_alu instid0(VALU_DEP_3) | instskip(NEXT) | instid1(VALU_DEP_1)
	v_mul_hi_u32 v3, v2, v3
	v_add_nc_u32_e32 v2, v2, v3
	s_delay_alu instid0(VALU_DEP_1) | instskip(NEXT) | instid1(VALU_DEP_1)
	v_mul_hi_u32 v2, v4, v2
	v_mul_lo_u32 v3, v2, s28
	s_delay_alu instid0(VALU_DEP_1) | instskip(SKIP_1) | instid1(VALU_DEP_2)
	v_sub_nc_u32_e32 v3, v4, v3
	v_add_nc_u32_e32 v4, 1, v2
	v_subrev_nc_u32_e32 v5, s28, v3
	v_cmp_le_u32_e64 s0, s28, v3
	s_delay_alu instid0(VALU_DEP_1) | instskip(NEXT) | instid1(VALU_DEP_3)
	v_cndmask_b32_e64 v2, v2, v4, s0
	v_cndmask_b32_e64 v3, v3, v5, s0
	s_delay_alu instid0(VALU_DEP_2) | instskip(NEXT) | instid1(VALU_DEP_2)
	v_add_nc_u32_e32 v4, 1, v2
	v_cmp_le_u32_e64 s0, s28, v3
	s_delay_alu instid0(VALU_DEP_1) | instskip(SKIP_1) | instid1(VALU_DEP_1)
	v_cndmask_b32_e64 v2, v2, v4, s0
	s_cselect_b32 s0, -1, 0
	v_add_co_ci_u32_e32 v4, vcc_lo, 1, v2, vcc_lo
	s_delay_alu instid0(VALU_DEP_1)
	v_cmp_lt_u32_e32 vcc_lo, 1, v4
	s_and_b32 s6, vcc_lo, s0
	s_mov_b32 s0, -1
	s_and_saveexec_b32 s4, s6
	s_cbranch_execz .LBB2_17
; %bb.14:
	v_dual_mov_b32 v2, v1 :: v_dual_and_b32 v5, -2, v4
	s_lshl_b64 s[6:7], s[24:25], 1
	s_waitcnt lgkmcnt(0)
	s_mov_b32 s8, s29
	s_add_u32 s6, s31, s6
	v_mov_b32_e32 v6, v5
	s_addc_u32 s7, s33, s7
.LBB2_15:                               ; =>This Inner Loop Header: Depth=1
	v_ashrrev_i32_e32 v3, 31, v2
	s_delay_alu instid0(VALU_DEP_2) | instskip(NEXT) | instid1(VALU_DEP_2)
	v_add_nc_u32_e32 v6, -2, v6
	v_lshlrev_b64 v[7:8], 1, v[2:3]
	s_delay_alu instid0(VALU_DEP_1) | instskip(NEXT) | instid1(VALU_DEP_2)
	v_add_co_u32 v7, vcc_lo, s6, v7
	v_add_co_ci_u32_e32 v8, vcc_lo, s7, v8, vcc_lo
	global_load_b32 v7, v[7:8], off
	s_waitcnt vmcnt(0)
	v_lshrrev_b32_e32 v8, 16, v7
	v_cvt_f32_f16_e32 v7, v7
	s_delay_alu instid0(VALU_DEP_2) | instskip(NEXT) | instid1(VALU_DEP_2)
	v_cvt_f32_f16_e32 v8, v8
	v_div_scale_f32 v9, null, s29, s29, v7
	v_div_scale_f32 v15, vcc_lo, v7, s29, v7
	s_delay_alu instid0(VALU_DEP_3) | instskip(NEXT) | instid1(VALU_DEP_3)
	v_div_scale_f32 v10, null, s8, s8, v8
	v_rcp_f32_e32 v11, v9
	s_delay_alu instid0(VALU_DEP_1) | instskip(SKIP_3) | instid1(VALU_DEP_2)
	v_rcp_f32_e32 v12, v10
	s_waitcnt_depctr 0xfff
	v_fma_f32 v13, -v9, v11, 1.0
	v_fma_f32 v14, -v10, v12, 1.0
	v_fmac_f32_e32 v11, v13, v11
	v_div_scale_f32 v13, s0, v8, s8, v8
	s_delay_alu instid0(VALU_DEP_3) | instskip(NEXT) | instid1(VALU_DEP_3)
	v_fmac_f32_e32 v12, v14, v12
	v_mul_f32_e32 v14, v15, v11
	s_delay_alu instid0(VALU_DEP_1) | instskip(NEXT) | instid1(VALU_DEP_1)
	v_fma_f32 v17, -v9, v14, v15
	v_fmac_f32_e32 v14, v17, v11
	s_delay_alu instid0(VALU_DEP_1) | instskip(NEXT) | instid1(VALU_DEP_1)
	v_fma_f32 v9, -v9, v14, v15
	v_div_fmas_f32 v9, v9, v11, v14
	s_mov_b32 vcc_lo, s0
	s_delay_alu instid0(VALU_DEP_1) | instskip(NEXT) | instid1(VALU_DEP_1)
	v_div_fixup_f32 v7, v9, s29, v7
	v_rndne_f32_e32 v7, v7
	v_mul_f32_e32 v16, v13, v12
	s_delay_alu instid0(VALU_DEP_1) | instskip(NEXT) | instid1(VALU_DEP_1)
	v_fma_f32 v18, -v10, v16, v13
	v_fmac_f32_e32 v16, v18, v12
	s_delay_alu instid0(VALU_DEP_1) | instskip(NEXT) | instid1(VALU_DEP_1)
	v_fma_f32 v10, -v10, v16, v13
	v_div_fmas_f32 v10, v10, v12, v16
	v_cmp_nlt_f32_e32 vcc_lo, 0x42fe0000, v7
	s_delay_alu instid0(VALU_DEP_2) | instskip(SKIP_1) | instid1(VALU_DEP_2)
	v_div_fixup_f32 v8, v10, s8, v8
	v_cndmask_b32_e32 v9, 0x42fe0000, v7, vcc_lo
	v_rndne_f32_e32 v8, v8
	s_delay_alu instid0(VALU_DEP_1) | instskip(SKIP_4) | instid1(VALU_DEP_2)
	v_cmp_nlt_f32_e32 vcc_lo, 0x42fe0000, v8
	v_cndmask_b32_e32 v10, 0x42fe0000, v8, vcc_lo
	v_cmp_ngt_f32_e32 vcc_lo, 0xc3000000, v7
	v_cndmask_b32_e32 v7, 0xc3000000, v9, vcc_lo
	v_cmp_ngt_f32_e32 vcc_lo, 0xc3000000, v8
	v_cvt_i32_f32_e32 v7, v7
	v_cndmask_b32_e32 v8, 0xc3000000, v10, vcc_lo
	v_cmp_eq_u32_e32 vcc_lo, 0, v6
	s_delay_alu instid0(VALU_DEP_3) | instskip(NEXT) | instid1(VALU_DEP_3)
	v_and_b32_e32 v9, 0xff, v7
	v_cvt_i32_f32_e32 v8, v8
	v_add_co_u32 v7, s0, s2, v2
	v_add_nc_u32_e32 v2, 2, v2
	s_or_b32 s5, vcc_lo, s5
	s_delay_alu instid0(VALU_DEP_3) | instskip(SKIP_1) | instid1(VALU_DEP_2)
	v_lshlrev_b16 v10, 8, v8
	v_add_co_ci_u32_e64 v8, s0, s3, v3, s0
	v_or_b32_e32 v3, v9, v10
	global_store_b16 v[7:8], v3, off
	s_and_not1_b32 exec_lo, exec_lo, s5
	s_cbranch_execnz .LBB2_15
; %bb.16:
	s_or_b32 exec_lo, exec_lo, s5
	v_cmp_ne_u32_e32 vcc_lo, v4, v5
	v_add_nc_u32_e32 v1, v1, v5
	s_or_not1_b32 s0, vcc_lo, exec_lo
.LBB2_17:
	s_or_b32 exec_lo, exec_lo, s4
	s_delay_alu instid0(SALU_CYCLE_1)
	s_and_b32 exec_lo, exec_lo, s0
	s_cbranch_execz .LBB2_20
; %bb.18:
	v_ashrrev_i32_e32 v2, 31, v1
	s_lshl_b64 s[4:5], s[24:25], 1
	s_delay_alu instid0(SALU_CYCLE_1) | instskip(SKIP_1) | instid1(VALU_DEP_1)
	s_add_u32 s0, s20, s4
	s_addc_u32 s4, s21, s5
	v_lshlrev_b64 v[3:4], 1, v[1:2]
	s_add_u32 s0, s16, s0
	s_addc_u32 s4, s17, s4
	s_lshl_b32 s5, s28, 1
	s_delay_alu instid0(VALU_DEP_1) | instskip(NEXT) | instid1(VALU_DEP_2)
	v_add_co_u32 v3, vcc_lo, s0, v3
	v_add_co_ci_u32_e32 v4, vcc_lo, s4, v4, vcc_lo
	s_mov_b32 s4, 0
.LBB2_19:                               ; =>This Inner Loop Header: Depth=1
	global_load_u16 v5, v[3:4], off
	s_waitcnt vmcnt(0)
	v_cvt_f32_f16_e32 v6, v5
	s_waitcnt lgkmcnt(0)
	s_delay_alu instid0(VALU_DEP_1) | instskip(SKIP_1) | instid1(VALU_DEP_2)
	v_div_scale_f32 v5, null, s29, s29, v6
	v_div_scale_f32 v9, vcc_lo, v6, s29, v6
	v_rcp_f32_e32 v7, v5
	s_waitcnt_depctr 0xfff
	v_fma_f32 v8, -v5, v7, 1.0
	s_delay_alu instid0(VALU_DEP_1) | instskip(NEXT) | instid1(VALU_DEP_1)
	v_fmac_f32_e32 v7, v8, v7
	v_mul_f32_e32 v8, v9, v7
	s_delay_alu instid0(VALU_DEP_1) | instskip(NEXT) | instid1(VALU_DEP_1)
	v_fma_f32 v10, -v5, v8, v9
	v_fmac_f32_e32 v8, v10, v7
	s_delay_alu instid0(VALU_DEP_1) | instskip(NEXT) | instid1(VALU_DEP_1)
	v_fma_f32 v5, -v5, v8, v9
	v_div_fmas_f32 v7, v5, v7, v8
	v_add_co_u32 v5, vcc_lo, s2, v1
	s_delay_alu instid0(VALU_DEP_2) | instskip(SKIP_2) | instid1(VALU_DEP_3)
	v_div_fixup_f32 v7, v7, s29, v6
	v_add_co_ci_u32_e32 v6, vcc_lo, s3, v2, vcc_lo
	v_add_co_u32 v1, vcc_lo, v1, s28
	v_rndne_f32_e32 v7, v7
	v_add_co_ci_u32_e32 v2, vcc_lo, 0, v2, vcc_lo
	s_delay_alu instid0(VALU_DEP_2) | instskip(SKIP_1) | instid1(VALU_DEP_2)
	v_cmp_nlt_f32_e64 s0, 0x42fe0000, v7
	v_cmp_ngt_f32_e32 vcc_lo, 0xc3000000, v7
	v_cndmask_b32_e64 v8, 0x42fe0000, v7, s0
	v_cmp_le_i32_e64 s0, s34, v1
	s_delay_alu instid0(VALU_DEP_2) | instskip(SKIP_2) | instid1(VALU_DEP_3)
	v_cndmask_b32_e32 v7, 0xc3000000, v8, vcc_lo
	v_add_co_u32 v3, vcc_lo, v3, s5
	v_add_co_ci_u32_e32 v4, vcc_lo, 0, v4, vcc_lo
	v_cvt_i32_f32_e32 v7, v7
	s_or_b32 s4, s0, s4
	global_store_b8 v[5:6], v7, off
	s_and_not1_b32 exec_lo, exec_lo, s4
	s_cbranch_execnz .LBB2_19
.LBB2_20:
	s_or_b32 exec_lo, exec_lo, s1
	s_mov_b32 s0, 0
.LBB2_21:
	s_delay_alu instid0(SALU_CYCLE_1)
	s_and_b32 vcc_lo, exec_lo, s0
	s_cbranch_vccz .LBB2_25
; %bb.22:
	s_ashr_i32 s24, s30, 4
	s_mov_b32 s0, exec_lo
	v_cmpx_gt_i32_e64 s24, v0
	s_cbranch_execz .LBB2_25
; %bb.23:
	v_lshlrev_b32_e32 v1, 4, v0
	s_add_u32 s0, s18, s22
	s_addc_u32 s1, s19, s23
	s_lshl_b32 s18, s28, 4
	s_delay_alu instid0(VALU_DEP_1) | instskip(SKIP_4) | instid1(VALU_DEP_2)
	v_add_co_u32 v9, s0, s0, v1
	v_lshlrev_b32_e32 v1, 5, v0
	v_add_co_ci_u32_e64 v10, null, s1, 0, s0
	s_add_u32 s0, s16, s20
	s_addc_u32 s1, s17, s21
	v_add_co_u32 v11, s0, s0, v1
	s_delay_alu instid0(VALU_DEP_1)
	v_add_co_ci_u32_e64 v12, null, s1, 0, s0
	s_mov_b32 s16, 0
	s_lshl_b32 s17, s28, 5
.LBB2_24:                               ; =>This Inner Loop Header: Depth=1
	s_clause 0x1
	global_load_b128 v[1:4], v[11:12], off
	global_load_b128 v[5:8], v[11:12], off offset:16
	v_add_co_u32 v11, vcc_lo, v11, s17
	v_add_co_ci_u32_e32 v12, vcc_lo, 0, v12, vcc_lo
	s_waitcnt vmcnt(1)
	v_lshrrev_b32_e32 v13, 16, v1
	v_cvt_f32_f16_e32 v1, v1
	v_lshrrev_b32_e32 v14, 16, v2
	s_waitcnt vmcnt(0)
	v_lshrrev_b32_e32 v18, 16, v6
	v_lshrrev_b32_e32 v19, 16, v7
	;; [unrolled: 1-line block ×3, first 2 shown]
	v_cvt_f32_f16_e32 v2, v2
	v_cvt_f32_f16_e32 v6, v6
	;; [unrolled: 1-line block ×4, first 2 shown]
	s_waitcnt lgkmcnt(0)
	v_div_scale_f32 v21, null, s29, s29, v1
	v_lshrrev_b32_e32 v15, 16, v3
	v_cvt_f32_f16_e32 v3, v3
	v_cvt_f32_f16_e32 v13, v13
	v_div_scale_f32 v23, null, s29, s29, v2
	v_cvt_f32_f16_e32 v14, v14
	v_div_scale_f32 v31, null, s29, s29, v6
	v_div_scale_f32 v33, null, s29, s29, v7
	v_cvt_f32_f16_e32 v19, v19
	v_div_scale_f32 v35, null, s29, s29, v8
	v_cvt_f32_f16_e32 v20, v20
	v_rcp_f32_e32 v37, v21
	v_div_scale_f32 v25, null, s29, s29, v3
	v_div_scale_f32 v38, null, s29, s29, v13
	v_rcp_f32_e32 v40, v23
	v_div_scale_f32 v41, null, s29, s29, v14
	v_rcp_f32_e32 v52, v31
	v_rcp_f32_e32 v55, v33
	v_div_scale_f32 v56, null, s29, s29, v19
	v_rcp_f32_e32 v58, v35
	v_div_scale_f32 v59, null, s29, s29, v20
	v_rcp_f32_e32 v43, v25
	v_rcp_f32_e32 v61, v38
	;; [unrolled: 1-line block ×5, first 2 shown]
	v_fma_f32 v69, -v21, v37, 1.0
	v_add_nc_u32_e32 v0, s28, v0
	v_div_scale_f32 v22, vcc_lo, v1, s29, v1
	v_fma_f32 v70, -v23, v40, 1.0
	s_delay_alu instid0(VALU_DEP_4)
	v_fmac_f32_e32 v37, v69, v37
	v_fma_f32 v74, -v31, v52, 1.0
	v_fma_f32 v75, -v33, v55, 1.0
	;; [unrolled: 1-line block ×3, first 2 shown]
	v_lshrrev_b32_e32 v16, 16, v4
	v_cvt_f32_f16_e32 v4, v4
	v_cvt_f32_f16_e32 v15, v15
	v_fma_f32 v71, -v25, v43, 1.0
	v_fma_f32 v69, -v38, v61, 1.0
	v_fmac_f32_e32 v40, v70, v40
	v_fma_f32 v70, -v41, v62, 1.0
	v_dual_fmac_f32 v52, v74, v52 :: v_dual_fmac_f32 v55, v75, v55
	v_fma_f32 v75, -v56, v67, 1.0
	v_dual_fmac_f32 v58, v76, v58 :: v_dual_mul_f32 v77, v22, v37
	v_fma_f32 v76, -v59, v68, 1.0
	v_lshrrev_b32_e32 v17, 16, v5
	v_cvt_f32_f16_e32 v5, v5
	v_div_scale_f32 v27, null, s29, s29, v4
	v_cvt_f32_f16_e32 v16, v16
	v_div_scale_f32 v42, s9, v14, s29, v14
	v_div_scale_f32 v44, null, s29, s29, v15
	v_dual_fmac_f32 v61, v69, v61 :: v_dual_fmac_f32 v62, v70, v62
	v_dual_fmac_f32 v67, v75, v67 :: v_dual_fmac_f32 v68, v76, v68
	v_fma_f32 v76, -v21, v77, v22
	v_div_scale_f32 v29, null, s29, s29, v5
	v_rcp_f32_e32 v46, v27
	v_div_scale_f32 v47, null, s29, s29, v16
	v_rcp_f32_e32 v63, v44
	v_dual_mul_f32 v80, v42, v62 :: v_dual_fmac_f32 v77, v76, v37
	v_div_scale_f32 v24, s1, v2, s29, v2
	v_rcp_f32_e32 v49, v29
	v_rcp_f32_e32 v64, v47
	s_delay_alu instid0(VALU_DEP_2)
	v_fma_f32 v21, -v21, v77, v22
	v_div_scale_f32 v26, s2, v3, s29, v3
	v_div_scale_f32 v36, s7, v8, s29, v8
	;; [unrolled: 1-line block ×3, first 2 shown]
	v_fma_f32 v72, -v27, v46, 1.0
	v_fmac_f32_e32 v43, v71, v43
	v_fma_f32 v71, -v44, v63, 1.0
	v_mul_f32_e32 v69, v24, v40
	v_div_fmas_f32 v21, v21, v37, v77
	v_div_scale_f32 v45, s10, v15, s29, v15
	v_mul_f32_e32 v70, v26, v43
	v_div_scale_f32 v60, s15, v20, s29, v20
	v_fma_f32 v73, -v29, v49, 1.0
	v_fmac_f32_e32 v46, v72, v46
	v_fma_f32 v72, -v47, v64, 1.0
	v_fmac_f32_e32 v63, v71, v63
	v_dual_mul_f32 v75, v36, v58 :: v_dual_mul_f32 v78, v39, v61
	v_fma_f32 v79, -v23, v69, v24
	v_div_fixup_f32 v1, v21, s29, v1
	v_cvt_f32_f16_e32 v17, v17
	v_fmac_f32_e32 v64, v72, v64
	s_delay_alu instid0(VALU_DEP_4)
	v_dual_mul_f32 v82, v45, v63 :: v_dual_fmac_f32 v69, v79, v40
	v_fma_f32 v79, -v38, v78, v39
	v_rndne_f32_e32 v1, v1
	v_mul_f32_e32 v76, v60, v68
	v_cvt_f32_f16_e32 v18, v18
	v_div_scale_f32 v50, null, s29, s29, v17
	v_fmac_f32_e32 v78, v79, v61
	s_delay_alu instid0(VALU_DEP_4) | instskip(NEXT) | instid1(VALU_DEP_4)
	v_fma_f32 v22, -v59, v76, v60
	v_div_scale_f32 v53, null, s29, s29, v18
	s_delay_alu instid0(VALU_DEP_4) | instskip(SKIP_1) | instid1(VALU_DEP_2)
	v_rcp_f32_e32 v65, v50
	s_mov_b32 vcc_lo, s8
	v_fmac_f32_e32 v76, v22, v68
	v_fma_f32 v22, -v38, v78, v39
	v_div_scale_f32 v28, s3, v4, s29, v4
	v_rcp_f32_e32 v66, v53
	v_div_scale_f32 v30, s4, v5, s29, v5
	v_fmac_f32_e32 v49, v73, v49
	v_div_fmas_f32 v21, v22, v61, v78
	v_div_scale_f32 v32, s5, v6, s29, v6
	v_fma_f32 v73, -v50, v65, 1.0
	s_delay_alu instid0(VALU_DEP_4)
	v_dual_mul_f32 v71, v28, v46 :: v_dual_mul_f32 v72, v30, v49
	v_fma_f32 v81, -v25, v70, v26
	v_div_fixup_f32 v13, v21, s29, v13
	v_div_scale_f32 v34, s6, v7, s29, v7
	v_div_scale_f32 v48, s11, v16, s29, v16
	v_fma_f32 v74, -v53, v66, 1.0
	v_fmac_f32_e32 v65, v73, v65
	v_mul_f32_e32 v73, v32, v52
	v_fma_f32 v83, -v27, v71, v28
	v_fma_f32 v85, -v29, v72, v30
	v_rndne_f32_e32 v13, v13
	v_fmac_f32_e32 v70, v81, v43
	v_fma_f32 v81, -v41, v80, v42
	v_div_scale_f32 v54, s13, v18, s29, v18
	v_fmac_f32_e32 v66, v74, v66
	v_mul_f32_e32 v74, v34, v55
	v_dual_mul_f32 v84, v48, v64 :: v_dual_fmac_f32 v71, v83, v46
	v_fma_f32 v87, -v31, v73, v32
	v_fma_f32 v83, -v44, v82, v45
	v_fmac_f32_e32 v72, v85, v49
	v_fmac_f32_e32 v80, v81, v62
	v_fma_f32 v23, -v23, v69, v24
	v_dual_mul_f32 v88, v54, v66 :: v_dual_fmac_f32 v73, v87, v52
	v_fmac_f32_e32 v82, v83, v63
	v_fma_f32 v24, -v25, v70, v26
	v_fma_f32 v26, -v29, v72, v30
	;; [unrolled: 1-line block ×3, first 2 shown]
	s_mov_b32 vcc_lo, s1
	v_fma_f32 v25, -v27, v71, v28
	v_div_fmas_f32 v22, v23, v40, v69
	s_mov_b32 vcc_lo, s9
	v_fma_f32 v27, -v31, v73, v32
	v_fma_f32 v31, -v44, v82, v45
	v_div_fmas_f32 v23, v30, v62, v80
	s_mov_b32 vcc_lo, s2
	v_div_fixup_f32 v2, v22, s29, v2
	v_div_fmas_f32 v21, v24, v43, v70
	s_mov_b32 vcc_lo, s10
	v_div_fixup_f32 v14, v23, s29, v14
	v_div_fmas_f32 v22, v31, v63, v82
	v_cmp_nlt_f32_e32 vcc_lo, 0x42fe0000, v1
	v_div_scale_f32 v51, s12, v17, s29, v17
	v_fma_f32 v85, -v47, v84, v48
	v_fma_f32 v89, -v33, v74, v34
	v_cndmask_b32_e32 v23, 0x42fe0000, v1, vcc_lo
	s_mov_b32 vcc_lo, s3
	v_cmp_ngt_f32_e64 s1, 0xc3000000, v1
	v_div_fmas_f32 v24, v25, v46, v71
	v_fmac_f32_e32 v84, v85, v64
	v_div_fixup_f32 v1, v21, s29, v3
	s_mov_b32 vcc_lo, s11
	v_rndne_f32_e32 v2, v2
	v_div_fixup_f32 v4, v24, s29, v4
	v_fma_f32 v32, -v47, v84, v48
	v_rndne_f32_e32 v1, v1
	v_fmac_f32_e32 v74, v89, v55
	v_div_fixup_f32 v15, v22, s29, v15
	v_rndne_f32_e32 v4, v4
	v_mul_f32_e32 v86, v51, v65
	v_div_fmas_f32 v3, v32, v64, v84
	s_mov_b32 vcc_lo, s4
	v_fma_f32 v28, -v33, v74, v34
	v_div_fmas_f32 v21, v26, v49, v72
	v_fma_f32 v87, -v50, v86, v51
	v_cmp_nlt_f32_e32 vcc_lo, 0x42fe0000, v13
	v_cndmask_b32_e64 v22, 0xc3000000, v23, s1
	v_fma_f32 v89, -v53, v88, v54
	v_cmp_ngt_f32_e64 s1, 0xc3000000, v13
	v_fmac_f32_e32 v86, v87, v65
	v_cndmask_b32_e32 v23, 0x42fe0000, v13, vcc_lo
	s_mov_b32 vcc_lo, s12
	v_rndne_f32_e32 v14, v14
	v_div_scale_f32 v57, s14, v19, s29, v19
	v_fma_f32 v33, -v50, v86, v51
	v_fmac_f32_e32 v88, v89, v66
	v_cmp_ngt_f32_e64 s2, 0xc3000000, v2
	v_fma_f32 v91, -v35, v75, v36
	v_mul_f32_e32 v90, v57, v67
	v_div_fmas_f32 v13, v33, v65, v86
	v_cmp_nlt_f32_e32 vcc_lo, 0x42fe0000, v2
	v_fma_f32 v34, -v53, v88, v54
	v_fmac_f32_e32 v75, v91, v58
	v_fma_f32 v91, -v56, v90, v57
	v_cmp_ngt_f32_e64 s3, 0xc3000000, v14
	v_cndmask_b32_e32 v24, 0x42fe0000, v2, vcc_lo
	s_mov_b32 vcc_lo, s5
	v_div_fixup_f32 v2, v3, s29, v16
	v_rndne_f32_e32 v3, v15
	v_div_fmas_f32 v15, v27, v52, v73
	v_cmp_nlt_f32_e32 vcc_lo, 0x42fe0000, v14
	v_fmac_f32_e32 v90, v91, v67
	v_div_fixup_f32 v5, v21, s29, v5
	v_cndmask_b32_e64 v21, 0xc3000000, v23, s1
	v_cmp_ngt_f32_e64 s1, 0xc3000000, v1
	v_cndmask_b32_e32 v16, 0x42fe0000, v14, vcc_lo
	s_mov_b32 vcc_lo, s13
	v_cvt_i32_f32_e32 v14, v22
	v_div_fmas_f32 v22, v34, v66, v88
	v_cmp_nlt_f32_e32 vcc_lo, 0x42fe0000, v1
	v_fma_f32 v29, -v35, v75, v36
	v_fma_f32 v35, -v56, v90, v57
	v_rndne_f32_e32 v2, v2
	v_fma_f32 v36, -v59, v76, v60
	v_cndmask_b32_e32 v23, 0x42fe0000, v1, vcc_lo
	s_mov_b32 vcc_lo, s6
	v_div_fixup_f32 v1, v13, s29, v17
	v_div_fmas_f32 v17, v28, v55, v74
	v_cmp_nlt_f32_e32 vcc_lo, 0x42fe0000, v3
	v_cndmask_b32_e64 v13, 0xc3000000, v24, s2
	v_cmp_ngt_f32_e64 s2, 0xc3000000, v3
	v_rndne_f32_e32 v5, v5
	v_rndne_f32_e32 v1, v1
	v_cndmask_b32_e32 v24, 0x42fe0000, v3, vcc_lo
	s_mov_b32 vcc_lo, s14
	v_div_fixup_f32 v3, v15, s29, v6
	v_div_fmas_f32 v15, v35, v67, v90
	v_cmp_nlt_f32_e32 vcc_lo, 0x42fe0000, v4
	v_cndmask_b32_e64 v6, 0xc3000000, v16, s3
	v_cvt_i32_f32_e32 v16, v21
	v_cmp_ngt_f32_e64 s3, 0xc3000000, v4
	v_rndne_f32_e32 v3, v3
	v_cndmask_b32_e32 v21, 0x42fe0000, v4, vcc_lo
	s_mov_b32 vcc_lo, s7
	v_div_fixup_f32 v4, v22, s29, v18
	v_div_fmas_f32 v22, v29, v58, v75
	v_cmp_nlt_f32_e32 vcc_lo, 0x42fe0000, v2
	v_cndmask_b32_e64 v18, 0xc3000000, v23, s1
	v_cmp_ngt_f32_e64 s1, 0xc3000000, v2
	v_rndne_f32_e32 v4, v4
	v_and_b32_e32 v14, 0xff, v14
	v_cndmask_b32_e32 v23, 0x42fe0000, v2, vcc_lo
	s_mov_b32 vcc_lo, s15
	v_div_fixup_f32 v2, v17, s29, v7
	v_cndmask_b32_e64 v7, 0xc3000000, v24, s2
	v_div_fmas_f32 v17, v36, v68, v76
	v_cmp_nlt_f32_e32 vcc_lo, 0x42fe0000, v5
	v_cmp_nlt_f32_e64 s2, 0x42fe0000, v1
	v_lshlrev_b16 v16, 8, v16
	v_rndne_f32_e32 v2, v2
	v_cvt_i32_f32_e32 v13, v13
	v_cndmask_b32_e32 v24, 0x42fe0000, v5, vcc_lo
	v_cmp_ngt_f32_e32 vcc_lo, 0xc3000000, v5
	v_div_fixup_f32 v5, v15, s29, v19
	v_cndmask_b32_e64 v19, 0x42fe0000, v1, s2
	v_cmp_ngt_f32_e64 s2, 0xc3000000, v1
	v_div_fixup_f32 v1, v22, s29, v8
	v_cndmask_b32_e64 v8, 0xc3000000, v23, s1
	v_cmp_nlt_f32_e64 s1, 0x42fe0000, v3
	v_cndmask_b32_e64 v15, 0xc3000000, v21, s3
	v_cvt_i32_f32_e32 v6, v6
	v_cvt_i32_f32_e32 v18, v18
	v_rndne_f32_e32 v5, v5
	v_cndmask_b32_e64 v21, 0x42fe0000, v3, s1
	v_cmp_ngt_f32_e64 s1, 0xc3000000, v3
	v_div_fixup_f32 v3, v17, s29, v20
	v_cndmask_b32_e32 v17, 0xc3000000, v24, vcc_lo
	v_cmp_nlt_f32_e32 vcc_lo, 0x42fe0000, v4
	v_and_b32_e32 v13, 0xff, v13
	v_lshlrev_b16 v6, 8, v6
	v_rndne_f32_e32 v1, v1
	v_cvt_i32_f32_e32 v15, v15
	v_cndmask_b32_e32 v20, 0x42fe0000, v4, vcc_lo
	v_cmp_ngt_f32_e32 vcc_lo, 0xc3000000, v4
	v_or_b32_e32 v4, v14, v16
	v_cndmask_b32_e64 v14, 0xc3000000, v19, s2
	v_cmp_nlt_f32_e64 s2, 0x42fe0000, v2
	v_and_b32_e32 v16, 0xff, v18
	v_rndne_f32_e32 v3, v3
	v_cvt_i32_f32_e32 v7, v7
	v_cvt_i32_f32_e32 v8, v8
	v_cndmask_b32_e64 v18, 0x42fe0000, v2, s2
	v_cmp_ngt_f32_e64 s2, 0xc3000000, v2
	v_cndmask_b32_e64 v2, 0xc3000000, v21, s1
	v_cmp_nlt_f32_e64 s1, 0x42fe0000, v5
	v_lshlrev_b16 v7, 8, v7
	v_lshlrev_b16 v8, 8, v8
	v_cvt_i32_f32_e32 v17, v17
	v_and_b32_e32 v4, 0xffff, v4
	v_cndmask_b32_e64 v19, 0x42fe0000, v5, s1
	v_cmp_ngt_f32_e64 s1, 0xc3000000, v5
	v_or_b32_e32 v5, v13, v6
	v_cndmask_b32_e32 v6, 0xc3000000, v20, vcc_lo
	v_cmp_nlt_f32_e32 vcc_lo, 0x42fe0000, v1
	v_and_b32_e32 v13, 0xff, v15
	v_cvt_i32_f32_e32 v14, v14
	v_cvt_i32_f32_e32 v2, v2
	v_lshlrev_b32_e32 v5, 16, v5
	v_cndmask_b32_e32 v15, 0x42fe0000, v1, vcc_lo
	v_cmp_ngt_f32_e32 vcc_lo, 0xc3000000, v1
	v_cndmask_b32_e64 v1, 0xc3000000, v18, s2
	v_cmp_nlt_f32_e64 s2, 0x42fe0000, v3
	v_cvt_i32_f32_e32 v6, v6
	v_or_b32_e32 v8, v13, v8
	v_cndmask_b32_e32 v15, 0xc3000000, v15, vcc_lo
	v_lshlrev_b16 v14, 8, v14
	v_cndmask_b32_e64 v18, 0x42fe0000, v3, s2
	v_cmp_ngt_f32_e64 s2, 0xc3000000, v3
	v_or_b32_e32 v3, v16, v7
	v_cndmask_b32_e64 v7, 0xc3000000, v19, s1
	v_and_b32_e32 v16, 0xff, v17
	v_cvt_i32_f32_e32 v17, v1
	v_cndmask_b32_e64 v13, 0xc3000000, v18, s2
	v_and_b32_e32 v2, 0xff, v2
	v_and_b32_e32 v3, 0xffff, v3
	v_cvt_i32_f32_e32 v7, v7
	v_or_b32_e32 v1, v4, v5
	v_lshlrev_b16 v4, 8, v6
	v_cvt_i32_f32_e32 v5, v15
	v_lshlrev_b32_e32 v8, 16, v8
	v_cvt_i32_f32_e32 v13, v13
	v_or_b32_e32 v6, v16, v14
	v_and_b32_e32 v14, 0xff, v17
	v_and_b32_e32 v5, 0xff, v5
	v_lshlrev_b16 v7, 8, v7
	v_or_b32_e32 v4, v2, v4
	v_or_b32_e32 v2, v3, v8
	v_lshlrev_b16 v3, 8, v13
	v_and_b32_e32 v6, 0xffff, v6
	v_or_b32_e32 v7, v14, v7
	v_lshlrev_b32_e32 v4, 16, v4
	v_cmp_le_i32_e64 s0, s24, v0
	v_or_b32_e32 v5, v5, v3
	s_delay_alu instid0(VALU_DEP_4) | instskip(NEXT) | instid1(VALU_DEP_4)
	v_and_b32_e32 v7, 0xffff, v7
	v_or_b32_e32 v3, v6, v4
	s_delay_alu instid0(VALU_DEP_4) | instskip(NEXT) | instid1(VALU_DEP_3)
	s_or_b32 s16, s0, s16
	v_lshlrev_b32_e32 v4, 16, v5
	s_delay_alu instid0(VALU_DEP_1)
	v_or_b32_e32 v4, v7, v4
	global_store_b128 v[9:10], v[1:4], off
	v_add_co_u32 v9, vcc_lo, v9, s18
	v_add_co_ci_u32_e32 v10, vcc_lo, 0, v10, vcc_lo
	s_and_not1_b32 exec_lo, exec_lo, s16
	s_cbranch_execnz .LBB2_24
.LBB2_25:
	s_nop 0
	s_sendmsg sendmsg(MSG_DEALLOC_VGPRS)
	s_endpgm
	.section	.rodata,"a",@progbits
	.p2align	6, 0x0
	.amdhsa_kernel _ZN4vllm31static_scaled_int8_quant_kernelIN3c104HalfEfEEvPKT_PaPKT0_i
		.amdhsa_group_segment_fixed_size 0
		.amdhsa_private_segment_fixed_size 0
		.amdhsa_kernarg_size 288
		.amdhsa_user_sgpr_count 15
		.amdhsa_user_sgpr_dispatch_ptr 0
		.amdhsa_user_sgpr_queue_ptr 0
		.amdhsa_user_sgpr_kernarg_segment_ptr 1
		.amdhsa_user_sgpr_dispatch_id 0
		.amdhsa_user_sgpr_private_segment_size 0
		.amdhsa_wavefront_size32 1
		.amdhsa_uses_dynamic_stack 0
		.amdhsa_enable_private_segment 0
		.amdhsa_system_sgpr_workgroup_id_x 1
		.amdhsa_system_sgpr_workgroup_id_y 0
		.amdhsa_system_sgpr_workgroup_id_z 0
		.amdhsa_system_sgpr_workgroup_info 0
		.amdhsa_system_vgpr_workitem_id 0
		.amdhsa_next_free_vgpr 94
		.amdhsa_next_free_sgpr 40
		.amdhsa_reserve_vcc 1
		.amdhsa_float_round_mode_32 0
		.amdhsa_float_round_mode_16_64 0
		.amdhsa_float_denorm_mode_32 3
		.amdhsa_float_denorm_mode_16_64 3
		.amdhsa_dx10_clamp 1
		.amdhsa_ieee_mode 1
		.amdhsa_fp16_overflow 0
		.amdhsa_workgroup_processor_mode 1
		.amdhsa_memory_ordered 1
		.amdhsa_forward_progress 0
		.amdhsa_shared_vgpr_count 0
		.amdhsa_exception_fp_ieee_invalid_op 0
		.amdhsa_exception_fp_denorm_src 0
		.amdhsa_exception_fp_ieee_div_zero 0
		.amdhsa_exception_fp_ieee_overflow 0
		.amdhsa_exception_fp_ieee_underflow 0
		.amdhsa_exception_fp_ieee_inexact 0
		.amdhsa_exception_int_div_zero 0
	.end_amdhsa_kernel
	.section	.text._ZN4vllm31static_scaled_int8_quant_kernelIN3c104HalfEfEEvPKT_PaPKT0_i,"axG",@progbits,_ZN4vllm31static_scaled_int8_quant_kernelIN3c104HalfEfEEvPKT_PaPKT0_i,comdat
.Lfunc_end2:
	.size	_ZN4vllm31static_scaled_int8_quant_kernelIN3c104HalfEfEEvPKT_PaPKT0_i, .Lfunc_end2-_ZN4vllm31static_scaled_int8_quant_kernelIN3c104HalfEfEEvPKT_PaPKT0_i
                                        ; -- End function
	.section	.AMDGPU.csdata,"",@progbits
; Kernel info:
; codeLenInByte = 7304
; NumSgprs: 42
; NumVgprs: 94
; ScratchSize: 0
; MemoryBound: 0
; FloatMode: 240
; IeeeMode: 1
; LDSByteSize: 0 bytes/workgroup (compile time only)
; SGPRBlocks: 5
; VGPRBlocks: 11
; NumSGPRsForWavesPerEU: 42
; NumVGPRsForWavesPerEU: 94
; Occupancy: 16
; WaveLimiterHint : 0
; COMPUTE_PGM_RSRC2:SCRATCH_EN: 0
; COMPUTE_PGM_RSRC2:USER_SGPR: 15
; COMPUTE_PGM_RSRC2:TRAP_HANDLER: 0
; COMPUTE_PGM_RSRC2:TGID_X_EN: 1
; COMPUTE_PGM_RSRC2:TGID_Y_EN: 0
; COMPUTE_PGM_RSRC2:TGID_Z_EN: 0
; COMPUTE_PGM_RSRC2:TIDIG_COMP_CNT: 0
	.section	.text._ZN4vllm35static_scaled_int8_azp_quant_kernelIN3c104HalfEfiEEvPKT_PaPKT0_PKT1_i,"axG",@progbits,_ZN4vllm35static_scaled_int8_azp_quant_kernelIN3c104HalfEfiEEvPKT_PaPKT0_PKT1_i,comdat
	.protected	_ZN4vllm35static_scaled_int8_azp_quant_kernelIN3c104HalfEfiEEvPKT_PaPKT0_PKT1_i ; -- Begin function _ZN4vllm35static_scaled_int8_azp_quant_kernelIN3c104HalfEfiEEvPKT_PaPKT0_PKT1_i
	.globl	_ZN4vllm35static_scaled_int8_azp_quant_kernelIN3c104HalfEfiEEvPKT_PaPKT0_PKT1_i
	.p2align	8
	.type	_ZN4vllm35static_scaled_int8_azp_quant_kernelIN3c104HalfEfiEEvPKT_PaPKT0_PKT1_i,@function
_ZN4vllm35static_scaled_int8_azp_quant_kernelIN3c104HalfEfiEEvPKT_PaPKT0_PKT1_i: ; @_ZN4vllm35static_scaled_int8_azp_quant_kernelIN3c104HalfEfiEEvPKT_PaPKT0_PKT1_i
; %bb.0:
	s_load_b256 s[16:23], s[0:1], 0x0
	s_waitcnt lgkmcnt(0)
	s_load_b32 s2, s[20:21], 0x0
	s_clause 0x1
	s_load_b32 s34, s[0:1], 0x20
	s_load_b32 s0, s[0:1], 0x34
	;; [unrolled: 1-line block ×3, first 2 shown]
	s_mov_b32 s1, 0
	s_waitcnt lgkmcnt(0)
	v_div_scale_f32 v1, null, s2, s2, 1.0
	v_div_scale_f32 v4, vcc_lo, 1.0, s2, 1.0
	s_ashr_i32 s3, s34, 31
	s_delay_alu instid0(VALU_DEP_2)
	v_rcp_f32_e32 v2, v1
	s_mul_hi_u32 s4, s34, s15
	s_mul_i32 s3, s3, s15
	s_mul_i32 s24, s34, s15
	s_add_i32 s25, s4, s3
	s_and_b32 s15, s0, 0xffff
	s_lshl_b64 s[20:21], s[24:25], 1
	s_delay_alu instid0(SALU_CYCLE_1)
	s_add_u32 s31, s16, s20
	s_addc_u32 s33, s17, s21
	s_waitcnt_depctr 0xfff
	v_fma_f32 v3, -v1, v2, 1.0
	s_add_u32 s22, s18, s24
	s_addc_u32 s23, s19, s25
	s_and_b32 s0, s31, 31
	s_delay_alu instid0(SALU_CYCLE_1) | instskip(SKIP_3) | instid1(SALU_CYCLE_1)
	s_cmp_lg_u64 s[0:1], 0
	v_fmac_f32_e32 v2, v3, v2
	s_cselect_b32 s0, -1, 0
	s_and_b32 s1, s34, 15
	s_cmp_lg_u32 s1, 0
	s_delay_alu instid0(VALU_DEP_1) | instskip(SKIP_1) | instid1(SALU_CYCLE_1)
	v_mul_f32_e32 v3, v4, v2
	s_cselect_b32 s1, -1, 0
	s_or_b32 s0, s1, s0
	s_delay_alu instid0(VALU_DEP_1) | instskip(NEXT) | instid1(VALU_DEP_1)
	v_fma_f32 v5, -v1, v3, v4
	v_fmac_f32_e32 v3, v5, v2
	s_delay_alu instid0(VALU_DEP_1) | instskip(NEXT) | instid1(VALU_DEP_1)
	v_fma_f32 v1, -v1, v3, v4
	v_div_fmas_f32 v1, v1, v2, v3
	s_and_b32 vcc_lo, exec_lo, s0
	s_mov_b32 s0, -1
	s_delay_alu instid0(VALU_DEP_1)
	v_div_fixup_f32 v14, v1, s2, 1.0
	s_cbranch_vccz .LBB3_98
; %bb.1:
	s_sub_i32 s0, 0, s31
	s_mov_b32 s1, exec_lo
	s_bfe_u32 s0, s0, 0x40001
	s_delay_alu instid0(SALU_CYCLE_1) | instskip(NEXT) | instid1(SALU_CYCLE_1)
	s_min_i32 s26, s0, s34
	v_cmpx_gt_i32_e64 s26, v0
	s_cbranch_execz .LBB3_13
; %bb.2:
	v_cvt_f32_u32_e32 v1, s15
	s_sub_i32 s0, 0, s15
	v_add_nc_u32_e32 v3, s15, v0
	s_cmp_eq_u32 s15, 1
	s_mov_b32 s2, 0
	v_rcp_iflag_f32_e32 v1, v1
	s_mov_b32 s3, -1
	v_cmp_gt_i32_e32 vcc_lo, s26, v3
	v_max_i32_e32 v4, s26, v3
	s_waitcnt_depctr 0xfff
	v_mul_f32_e32 v1, 0x4f7ffffe, v1
	s_delay_alu instid0(VALU_DEP_1) | instskip(NEXT) | instid1(VALU_DEP_1)
	v_cvt_u32_f32_e32 v1, v1
	v_mul_lo_u32 v2, s0, v1
	v_add_co_ci_u32_e64 v3, s0, s15, v0, vcc_lo
	s_delay_alu instid0(VALU_DEP_1) | instskip(NEXT) | instid1(VALU_DEP_3)
	v_sub_nc_u32_e32 v3, v4, v3
	v_mul_hi_u32 v2, v1, v2
	s_delay_alu instid0(VALU_DEP_1) | instskip(NEXT) | instid1(VALU_DEP_1)
	v_add_nc_u32_e32 v1, v1, v2
	v_mul_hi_u32 v1, v3, v1
	s_delay_alu instid0(VALU_DEP_1) | instskip(NEXT) | instid1(VALU_DEP_1)
	v_mul_lo_u32 v2, v1, s15
	v_sub_nc_u32_e32 v2, v3, v2
	v_add_nc_u32_e32 v3, 1, v1
	s_delay_alu instid0(VALU_DEP_2) | instskip(SKIP_1) | instid1(VALU_DEP_1)
	v_subrev_nc_u32_e32 v4, s15, v2
	v_cmp_le_u32_e64 s0, s15, v2
	v_cndmask_b32_e64 v1, v1, v3, s0
	s_delay_alu instid0(VALU_DEP_3) | instskip(NEXT) | instid1(VALU_DEP_2)
	v_cndmask_b32_e64 v2, v2, v4, s0
	v_add_nc_u32_e32 v3, 1, v1
	s_delay_alu instid0(VALU_DEP_2) | instskip(NEXT) | instid1(VALU_DEP_1)
	v_cmp_le_u32_e64 s0, s15, v2
	v_cndmask_b32_e64 v1, v1, v3, s0
	s_cselect_b32 s0, -1, 0
	s_delay_alu instid0(VALU_DEP_1) | instskip(SKIP_1) | instid1(VALU_DEP_2)
	v_add_co_ci_u32_e32 v3, vcc_lo, 1, v1, vcc_lo
	v_mov_b32_e32 v1, v0
	v_cmp_lt_u32_e32 vcc_lo, 1, v3
	s_and_b32 s4, vcc_lo, s0
	s_delay_alu instid0(SALU_CYCLE_1)
	s_and_saveexec_b32 s0, s4
	s_cbranch_execz .LBB3_6
; %bb.3:
	v_dual_mov_b32 v1, v0 :: v_dual_and_b32 v4, -2, v3
	v_mov_b32_e32 v2, 0
	s_mov_b32 s3, s30
	s_movk_i32 s4, 0xff80
	s_delay_alu instid0(VALU_DEP_2)
	v_mov_b32_e32 v5, v4
.LBB3_4:                                ; =>This Inner Loop Header: Depth=1
	s_delay_alu instid0(VALU_DEP_1) | instskip(NEXT) | instid1(VALU_DEP_2)
	v_lshlrev_b64 v[6:7], 1, v[1:2]
	v_add_nc_u32_e32 v5, -2, v5
	s_delay_alu instid0(VALU_DEP_2) | instskip(NEXT) | instid1(VALU_DEP_3)
	v_add_co_u32 v6, vcc_lo, s31, v6
	v_add_co_ci_u32_e32 v7, vcc_lo, s33, v7, vcc_lo
	global_load_b32 v6, v[6:7], off
	s_waitcnt vmcnt(0)
	v_lshrrev_b32_e32 v7, 16, v6
	v_cvt_f32_f16_e32 v6, v6
	s_delay_alu instid0(VALU_DEP_2) | instskip(NEXT) | instid1(VALU_DEP_1)
	v_cvt_f32_f16_e32 v7, v7
	v_mul_f32_e32 v7, v14, v7
	s_delay_alu instid0(VALU_DEP_1) | instskip(NEXT) | instid1(VALU_DEP_4)
	v_rndne_f32_e32 v7, v7
	v_mul_f32_e32 v6, v14, v6
	s_delay_alu instid0(VALU_DEP_1) | instskip(NEXT) | instid1(VALU_DEP_1)
	v_rndne_f32_e32 v6, v6
	v_cmp_nge_f32_e32 vcc_lo, 0xcf000000, v6
	v_cndmask_b32_e32 v8, 0xcf000000, v6, vcc_lo
	v_cmp_nge_f32_e32 vcc_lo, 0xcf000000, v7
	s_delay_alu instid0(VALU_DEP_2) | instskip(SKIP_2) | instid1(VALU_DEP_2)
	v_cvt_i32_f32_e32 v8, v8
	v_cndmask_b32_e32 v9, 0xcf000000, v7, vcc_lo
	v_cmp_nle_f32_e32 vcc_lo, 0x4f000000, v6
	v_cvt_i32_f32_e32 v9, v9
	s_delay_alu instid0(VALU_DEP_4) | instskip(SKIP_1) | instid1(VALU_DEP_2)
	v_cndmask_b32_e32 v6, 0x7fffffff, v8, vcc_lo
	v_cmp_nle_f32_e32 vcc_lo, 0x4f000000, v7
	v_add_nc_u32_e32 v6, s30, v6
	s_delay_alu instid0(VALU_DEP_4) | instskip(SKIP_1) | instid1(VALU_DEP_3)
	v_cndmask_b32_e32 v7, 0x7fffffff, v9, vcc_lo
	v_cmp_eq_u32_e32 vcc_lo, 0, v5
	v_med3_i32 v6, v6, s4, 0x7f
	s_delay_alu instid0(VALU_DEP_3) | instskip(SKIP_1) | instid1(VALU_DEP_2)
	v_add_nc_u32_e32 v7, s3, v7
	s_or_b32 s2, vcc_lo, s2
	v_and_b32_e32 v6, 0xff, v6
	s_delay_alu instid0(VALU_DEP_2) | instskip(NEXT) | instid1(VALU_DEP_1)
	v_med3_i32 v7, v7, s4, 0x7f
	v_lshlrev_b16 v7, 8, v7
	s_delay_alu instid0(VALU_DEP_1)
	v_or_b32_e32 v6, v6, v7
	global_store_b16 v1, v6, s[22:23]
	v_add_nc_u32_e32 v1, 2, v1
	s_and_not1_b32 exec_lo, exec_lo, s2
	s_cbranch_execnz .LBB3_4
; %bb.5:
	s_or_b32 exec_lo, exec_lo, s2
	v_cmp_ne_u32_e32 vcc_lo, v3, v4
	v_add_nc_u32_e32 v1, v0, v4
	s_or_not1_b32 s3, vcc_lo, exec_lo
.LBB3_6:
	s_or_b32 exec_lo, exec_lo, s0
	s_delay_alu instid0(SALU_CYCLE_1)
	s_and_b32 exec_lo, exec_lo, s3
	s_cbranch_execz .LBB3_13
; %bb.7:
	v_mov_b32_e32 v2, 0
	s_add_u32 s0, s18, s24
	s_addc_u32 s2, s19, s25
	v_add_co_u32 v4, s0, s0, v1
	s_delay_alu instid0(VALU_DEP_2) | instskip(SKIP_4) | instid1(VALU_DEP_2)
	v_lshlrev_b64 v[2:3], 1, v[1:2]
	v_add_co_ci_u32_e64 v5, null, s2, 0, s0
	s_add_u32 s0, s16, s20
	s_addc_u32 s2, s17, s21
	s_mov_b32 s4, 0
	v_add_co_u32 v2, vcc_lo, s0, v2
	v_add_co_ci_u32_e32 v3, vcc_lo, s2, v3, vcc_lo
	s_lshl_b32 s5, s15, 1
	s_mov_b64 s[2:3], 0
	s_movk_i32 s6, 0xff80
	s_set_inst_prefetch_distance 0x1
	s_branch .LBB3_10
	.p2align	6
.LBB3_8:                                ;   in Loop: Header=BB3_10 Depth=1
	s_or_b32 exec_lo, exec_lo, s7
.LBB3_9:                                ;   in Loop: Header=BB3_10 Depth=1
	s_delay_alu instid0(SALU_CYCLE_1)
	s_or_b32 exec_lo, exec_lo, s0
	v_add_co_u32 v7, vcc_lo, v4, s2
	s_add_u32 s2, s2, s15
	v_add_nc_u32_e32 v6, s30, v6
	v_add_nc_u32_e32 v9, s2, v1
	v_add_co_ci_u32_e32 v8, vcc_lo, s3, v5, vcc_lo
	v_add_co_u32 v2, s0, v2, s5
	s_delay_alu instid0(VALU_DEP_3)
	v_cmp_le_i32_e32 vcc_lo, s26, v9
	v_med3_i32 v6, v6, s6, 0x7f
	v_add_co_ci_u32_e64 v3, s0, 0, v3, s0
	s_addc_u32 s3, s3, 0
	s_or_b32 s4, vcc_lo, s4
	global_store_b8 v[7:8], v6, off
	s_and_not1_b32 exec_lo, exec_lo, s4
	s_cbranch_execz .LBB3_13
.LBB3_10:                               ; =>This Inner Loop Header: Depth=1
	global_load_u16 v6, v[2:3], off
	s_mov_b32 s0, exec_lo
	s_waitcnt vmcnt(0)
	v_cvt_f32_f16_e32 v6, v6
	s_delay_alu instid0(VALU_DEP_1) | instskip(NEXT) | instid1(VALU_DEP_1)
	v_mul_f32_e32 v6, v14, v6
	v_rndne_f32_e32 v7, v6
	v_bfrev_b32_e32 v6, -2
	s_delay_alu instid0(VALU_DEP_2)
	v_cmpx_nle_f32_e32 0x4f000000, v7
	s_cbranch_execz .LBB3_9
; %bb.11:                               ;   in Loop: Header=BB3_10 Depth=1
	v_bfrev_b32_e32 v6, 1
	s_mov_b32 s7, exec_lo
	v_cmpx_nge_f32_e32 0xcf000000, v7
	s_cbranch_execz .LBB3_8
; %bb.12:                               ;   in Loop: Header=BB3_10 Depth=1
	v_cvt_i32_f32_e32 v6, v7
	s_branch .LBB3_8
.LBB3_13:
	s_set_inst_prefetch_distance 0x2
	s_or_b32 exec_lo, exec_lo, s1
	s_ashr_i32 s27, s26, 31
	s_mov_b32 s41, exec_lo
	s_lshl_b64 s[28:29], s[26:27], 1
	s_delay_alu instid0(SALU_CYCLE_1) | instskip(SKIP_4) | instid1(SALU_CYCLE_1)
	s_add_u32 s36, s31, s28
	s_addc_u32 s37, s33, s29
	s_add_u32 s38, s22, s26
	s_addc_u32 s39, s23, s27
	s_sub_i32 s35, s34, s26
	s_ashr_i32 s0, s35, 31
	s_delay_alu instid0(SALU_CYCLE_1) | instskip(NEXT) | instid1(SALU_CYCLE_1)
	s_lshr_b32 s0, s0, 28
	s_add_i32 s0, s35, s0
	s_delay_alu instid0(SALU_CYCLE_1) | instskip(NEXT) | instid1(SALU_CYCLE_1)
	s_ashr_i32 s40, s0, 4
	v_cmpx_gt_i32_e64 s40, v0
	s_cbranch_execz .LBB3_85
; %bb.14:
	v_cvt_f32_u32_e32 v1, s15
	s_sub_i32 s0, 0, s15
	v_add_nc_u32_e32 v3, s15, v0
	s_cmp_eq_u32 s15, 1
	v_mov_b32_e32 v9, v0
	v_rcp_iflag_f32_e32 v1, v1
	s_mov_b32 s43, 0
	v_cmp_gt_i32_e32 vcc_lo, s40, v3
	v_max_i32_e32 v4, s40, v3
	s_waitcnt_depctr 0xfff
	v_mul_f32_e32 v1, 0x4f7ffffe, v1
	s_delay_alu instid0(VALU_DEP_1) | instskip(NEXT) | instid1(VALU_DEP_1)
	v_cvt_u32_f32_e32 v1, v1
	v_mul_lo_u32 v2, s0, v1
	v_add_co_ci_u32_e64 v3, s0, s15, v0, vcc_lo
	s_delay_alu instid0(VALU_DEP_1) | instskip(NEXT) | instid1(VALU_DEP_3)
	v_sub_nc_u32_e32 v3, v4, v3
	v_mul_hi_u32 v2, v1, v2
	s_delay_alu instid0(VALU_DEP_1) | instskip(NEXT) | instid1(VALU_DEP_1)
	v_add_nc_u32_e32 v1, v1, v2
	v_mul_hi_u32 v1, v3, v1
	s_delay_alu instid0(VALU_DEP_1) | instskip(NEXT) | instid1(VALU_DEP_1)
	v_mul_lo_u32 v2, v1, s15
	v_sub_nc_u32_e32 v2, v3, v2
	v_add_nc_u32_e32 v3, 1, v1
	s_delay_alu instid0(VALU_DEP_2) | instskip(SKIP_1) | instid1(VALU_DEP_1)
	v_subrev_nc_u32_e32 v4, s15, v2
	v_cmp_le_u32_e64 s0, s15, v2
	v_cndmask_b32_e64 v1, v1, v3, s0
	s_delay_alu instid0(VALU_DEP_3) | instskip(NEXT) | instid1(VALU_DEP_2)
	v_cndmask_b32_e64 v2, v2, v4, s0
	v_add_nc_u32_e32 v3, 1, v1
	s_delay_alu instid0(VALU_DEP_2) | instskip(NEXT) | instid1(VALU_DEP_1)
	v_cmp_le_u32_e64 s0, s15, v2
	v_cndmask_b32_e64 v1, v1, v3, s0
	s_cselect_b32 s0, -1, 0
	s_delay_alu instid0(VALU_DEP_1) | instskip(NEXT) | instid1(VALU_DEP_1)
	v_add_co_ci_u32_e32 v10, vcc_lo, 1, v1, vcc_lo
	v_cmp_lt_u32_e32 vcc_lo, 1, v10
	s_and_b32 s1, vcc_lo, s0
	s_mov_b32 s0, -1
	s_and_saveexec_b32 s42, s1
	s_cbranch_execz .LBB3_18
; %bb.15:
	v_dual_mov_b32 v2, 0 :: v_dual_and_b32 v9, -2, v10
	v_add_nc_u32_e32 v1, 1, v0
	s_mov_b32 s44, s30
	s_movk_i32 s45, 0xff80
	s_delay_alu instid0(VALU_DEP_2) | instskip(NEXT) | instid1(VALU_DEP_2)
	v_mov_b32_e32 v11, v9
	v_dual_mov_b32 v4, v1 :: v_dual_mov_b32 v3, v0
.LBB3_16:                               ; =>This Inner Loop Header: Depth=1
	s_delay_alu instid0(VALU_DEP_1) | instskip(NEXT) | instid1(VALU_DEP_3)
	v_dual_mov_b32 v1, v3 :: v_dual_mov_b32 v6, v2
	v_add_nc_u32_e32 v11, -2, v11
	s_delay_alu instid0(VALU_DEP_3) | instskip(NEXT) | instid1(VALU_DEP_3)
	v_dual_mov_b32 v5, v4 :: v_dual_add_nc_u32 v4, 2, v4
	v_lshlrev_b64 v[7:8], 5, v[1:2]
	v_lshlrev_b64 v[15:16], 4, v[1:2]
	s_delay_alu instid0(VALU_DEP_4) | instskip(NEXT) | instid1(VALU_DEP_4)
	v_cmp_eq_u32_e32 vcc_lo, 0, v11
	v_lshlrev_b64 v[12:13], 5, v[5:6]
	v_lshlrev_b64 v[17:18], 4, v[5:6]
	s_or_b32 s43, vcc_lo, s43
	v_add_co_u32 v23, vcc_lo, s36, v7
	v_add_co_ci_u32_e32 v24, vcc_lo, s37, v8, vcc_lo
	s_delay_alu instid0(VALU_DEP_4)
	v_add_co_u32 v12, vcc_lo, s36, v12
	v_add_co_ci_u32_e32 v13, vcc_lo, s37, v13, vcc_lo
	v_add_co_u32 v5, vcc_lo, s38, v15
	v_add_co_ci_u32_e32 v6, vcc_lo, s39, v16, vcc_lo
	v_add_co_u32 v7, vcc_lo, s38, v17
	v_add_co_ci_u32_e32 v8, vcc_lo, s39, v18, vcc_lo
	s_clause 0x3
	global_load_b128 v[15:18], v[23:24], off
	global_load_b128 v[19:22], v[12:13], off
	global_load_b128 v[23:26], v[23:24], off offset:16
	global_load_b128 v[27:30], v[12:13], off offset:16
	s_waitcnt vmcnt(3)
	v_lshrrev_b32_e32 v31, 16, v18
	s_waitcnt vmcnt(2)
	v_lshrrev_b32_e32 v33, 16, v20
	v_cvt_f32_f16_e32 v20, v20
	v_cvt_f32_f16_e32 v18, v18
	v_lshrrev_b32_e32 v13, 16, v17
	v_cvt_f32_f16_e32 v17, v17
	v_lshrrev_b32_e32 v1, 16, v15
	v_mul_f32_e32 v20, v14, v20
	v_lshrrev_b32_e32 v12, 16, v16
	v_cvt_f32_f16_e32 v15, v15
	v_cvt_f32_f16_e32 v16, v16
	v_add_nc_u32_e32 v3, 2, v3
	v_rndne_f32_e32 v20, v20
	v_mul_f32_e32 v18, v14, v18
	v_lshrrev_b32_e32 v32, 16, v19
	v_cvt_f32_f16_e32 v19, v19
	v_mul_f32_e32 v16, v14, v16
	v_lshrrev_b32_e32 v34, 16, v21
	v_rndne_f32_e32 v18, v18
	v_mul_f32_e32 v17, v14, v17
	v_cvt_f32_f16_e32 v21, v21
	v_rndne_f32_e32 v16, v16
	v_mul_f32_e32 v19, v14, v19
	v_lshrrev_b32_e32 v35, 16, v22
	v_rndne_f32_e32 v17, v17
	v_mul_f32_e32 v15, v14, v15
	v_cvt_f32_f16_e32 v22, v22
	v_rndne_f32_e32 v19, v19
	s_waitcnt vmcnt(0)
	v_lshrrev_b32_e32 v41, 16, v28
	v_cvt_f32_f16_e32 v28, v28
	v_rndne_f32_e32 v15, v15
	v_lshrrev_b32_e32 v39, 16, v26
	v_cvt_f32_f16_e32 v26, v26
	v_lshrrev_b32_e32 v38, 16, v25
	v_cvt_f32_f16_e32 v25, v25
	v_cmp_nge_f32_e32 vcc_lo, 0xcf000000, v15
	v_mul_f32_e32 v21, v14, v21
	v_lshrrev_b32_e32 v36, 16, v23
	v_lshrrev_b32_e32 v37, 16, v24
	v_cvt_f32_f16_e32 v23, v23
	v_cndmask_b32_e32 v44, 0xcf000000, v15, vcc_lo
	v_cmp_nge_f32_e32 vcc_lo, 0xcf000000, v19
	v_mul_f32_e32 v22, v14, v22
	v_rndne_f32_e32 v21, v21
	v_cvt_f32_f16_e32 v24, v24
	v_lshrrev_b32_e32 v40, 16, v27
	v_cndmask_b32_e32 v45, 0xcf000000, v19, vcc_lo
	v_cmp_nge_f32_e32 vcc_lo, 0xcf000000, v16
	v_rndne_f32_e32 v22, v22
	v_cvt_f32_f16_e32 v27, v27
	v_lshrrev_b32_e32 v42, 16, v29
	v_cvt_f32_f16_e32 v29, v29
	v_cndmask_b32_e32 v46, 0xcf000000, v16, vcc_lo
	v_cmp_nge_f32_e32 vcc_lo, 0xcf000000, v20
	v_lshrrev_b32_e32 v43, 16, v30
	v_cvt_f32_f16_e32 v30, v30
	v_cvt_f32_f16_e32 v32, v32
	;; [unrolled: 1-line block ×3, first 2 shown]
	v_cndmask_b32_e32 v47, 0xcf000000, v20, vcc_lo
	v_cmp_nge_f32_e32 vcc_lo, 0xcf000000, v17
	v_cvt_f32_f16_e32 v12, v12
	v_cvt_f32_f16_e32 v33, v33
	;; [unrolled: 1-line block ×4, first 2 shown]
	v_cndmask_b32_e32 v48, 0xcf000000, v17, vcc_lo
	v_cmp_nge_f32_e32 vcc_lo, 0xcf000000, v21
	v_mul_f32_e32 v28, v14, v28
	v_cvt_f32_f16_e32 v36, v36
	v_mul_f32_e32 v1, v14, v1
	v_cvt_f32_f16_e32 v34, v34
	v_cndmask_b32_e32 v49, 0xcf000000, v21, vcc_lo
	v_rndne_f32_e32 v28, v28
	v_mul_f32_e32 v26, v14, v26
	v_cmp_nge_f32_e32 vcc_lo, 0xcf000000, v18
	v_cvt_f32_f16_e32 v35, v35
	v_cvt_f32_f16_e32 v40, v40
	v_mul_f32_e32 v33, v14, v33
	v_rndne_f32_e32 v26, v26
	v_dual_mul_f32 v25, v14, v25 :: v_dual_cndmask_b32 v50, 0xcf000000, v18
	v_cmp_nge_f32_e32 vcc_lo, 0xcf000000, v22
	v_mul_f32_e32 v24, v14, v24
	v_mul_f32_e32 v13, v14, v13
	s_delay_alu instid0(VALU_DEP_4)
	v_rndne_f32_e32 v25, v25
	v_mul_f32_e32 v23, v14, v23
	v_cndmask_b32_e32 v51, 0xcf000000, v22, vcc_lo
	v_rndne_f32_e32 v24, v24
	v_mul_f32_e32 v27, v14, v27
	v_mul_f32_e32 v31, v14, v31
	v_rndne_f32_e32 v23, v23
	v_mul_f32_e32 v36, v14, v36
	v_rndne_f32_e32 v1, v1
	v_rndne_f32_e32 v27, v27
	v_mul_f32_e32 v35, v14, v35
	v_cmp_nge_f32_e32 vcc_lo, 0xcf000000, v23
	v_mul_f32_e32 v29, v14, v29
	v_mul_f32_e32 v40, v14, v40
	v_rndne_f32_e32 v33, v33
	v_rndne_f32_e32 v13, v13
	v_cndmask_b32_e32 v52, 0xcf000000, v23, vcc_lo
	v_cmp_nge_f32_e32 vcc_lo, 0xcf000000, v27
	v_mul_f32_e32 v30, v14, v30
	v_rndne_f32_e32 v29, v29
	v_rndne_f32_e32 v31, v31
	v_rndne_f32_e32 v36, v36
	v_cndmask_b32_e32 v53, 0xcf000000, v27, vcc_lo
	v_cmp_nge_f32_e32 vcc_lo, 0xcf000000, v24
	v_rndne_f32_e32 v30, v30
	v_cvt_i32_f32_e32 v45, v45
	v_cmp_nge_f32_e64 s0, 0xcf000000, v1
	v_rndne_f32_e32 v35, v35
	v_cndmask_b32_e32 v54, 0xcf000000, v24, vcc_lo
	v_cmp_nge_f32_e32 vcc_lo, 0xcf000000, v28
	v_rndne_f32_e32 v40, v40
	v_cmp_nle_f32_e64 s1, 0x4f000000, v16
	v_cmp_nge_f32_e64 s4, 0xcf000000, v13
	v_cmp_nge_f32_e64 s6, 0xcf000000, v31
	v_cndmask_b32_e32 v55, 0xcf000000, v28, vcc_lo
	v_cmp_nge_f32_e32 vcc_lo, 0xcf000000, v25
	v_cmp_nge_f32_e64 s8, 0xcf000000, v36
	v_cvt_f32_f16_e32 v37, v37
	v_cvt_f32_f16_e32 v38, v38
	v_cvt_i32_f32_e32 v49, v49
	v_cndmask_b32_e32 v56, 0xcf000000, v25, vcc_lo
	v_cmp_nge_f32_e32 vcc_lo, 0xcf000000, v29
	v_mul_f32_e32 v32, v14, v32
	v_cmp_nle_f32_e64 s3, 0x4f000000, v17
	v_cndmask_b32_e64 v17, 0xcf000000, v13, s4
	v_cmp_nle_f32_e64 s5, 0x4f000000, v18
	v_cndmask_b32_e32 v57, 0xcf000000, v29, vcc_lo
	v_cmp_nge_f32_e32 vcc_lo, 0xcf000000, v26
	v_rndne_f32_e32 v32, v32
	v_cndmask_b32_e64 v18, 0xcf000000, v31, s6
	v_cmp_nge_f32_e64 s6, 0xcf000000, v35
	v_cmp_nle_f32_e64 s7, 0x4f000000, v23
	v_cndmask_b32_e32 v58, 0xcf000000, v26, vcc_lo
	v_cmp_nge_f32_e32 vcc_lo, 0xcf000000, v30
	v_mul_f32_e32 v12, v14, v12
	v_cndmask_b32_e64 v23, 0xcf000000, v36, s8
	v_cmp_nge_f32_e64 s8, 0xcf000000, v40
	v_cvt_f32_f16_e32 v41, v41
	v_cndmask_b32_e32 v59, 0xcf000000, v30, vcc_lo
	v_rndne_f32_e32 v12, v12
	v_cmp_nle_f32_e32 vcc_lo, 0x4f000000, v19
	v_mul_f32_e32 v34, v14, v34
	v_cvt_i32_f32_e32 v19, v44
	v_cndmask_b32_e64 v44, 0xcf000000, v1, s0
	v_cmp_nge_f32_e64 s2, 0xcf000000, v12
	v_cmp_nge_f32_e64 s0, 0xcf000000, v32
	v_rndne_f32_e32 v34, v34
	v_cvt_f32_f16_e32 v42, v42
	v_mul_f32_e32 v37, v14, v37
	v_cndmask_b32_e64 v16, 0xcf000000, v12, s2
	v_cmp_nge_f32_e64 s2, 0xcf000000, v33
	v_cndmask_b32_e64 v60, 0xcf000000, v32, s0
	v_cmp_nle_f32_e64 s0, 0x4f000000, v20
	v_cvt_i32_f32_e32 v20, v46
	v_cmp_nge_f32_e64 s4, 0xcf000000, v34
	v_cndmask_b32_e64 v46, 0xcf000000, v33, s2
	v_cmp_nle_f32_e64 s2, 0x4f000000, v21
	v_cvt_i32_f32_e32 v21, v48
	v_cmp_nle_f32_e64 s9, 0x4f000000, v24
	v_cndmask_b32_e64 v48, 0xcf000000, v34, s4
	v_cmp_nle_f32_e64 s4, 0x4f000000, v22
	v_cvt_i32_f32_e32 v22, v50
	v_cndmask_b32_e64 v50, 0xcf000000, v35, s6
	v_cmp_nle_f32_e64 s6, 0x4f000000, v27
	v_cvt_i32_f32_e32 v27, v52
	v_cndmask_b32_e64 v52, 0xcf000000, v40, s8
	v_cmp_nle_f32_e64 s8, 0x4f000000, v28
	v_cvt_i32_f32_e32 v28, v54
	v_cndmask_b32_e64 v20, 0x7fffffff, v20, s1
	v_cmp_nle_f32_e64 s1, 0x4f000000, v12
	v_cndmask_b32_e64 v12, 0x7fffffff, v21, s3
	v_cndmask_b32_e64 v21, 0x7fffffff, v49, s2
	v_mul_f32_e32 v38, v14, v38
	v_mul_f32_e32 v42, v14, v42
	v_rndne_f32_e32 v37, v37
	v_cndmask_b32_e64 v28, 0x7fffffff, v28, s9
	v_mul_f32_e32 v41, v14, v41
	v_add_nc_u32_e32 v21, s44, v21
	v_rndne_f32_e32 v38, v38
	v_rndne_f32_e32 v42, v42
	v_add_nc_u32_e32 v28, s30, v28
	v_rndne_f32_e32 v41, v41
	v_cmp_nge_f32_e64 s10, 0xcf000000, v37
	v_cmp_nge_f32_e64 s12, 0xcf000000, v38
	v_cvt_f32_f16_e32 v39, v39
	v_cmp_nle_f32_e64 s11, 0x4f000000, v25
	v_cvt_f32_f16_e32 v43, v43
	v_cndmask_b32_e64 v24, 0xcf000000, v37, s10
	v_cmp_nge_f32_e64 s10, 0xcf000000, v41
	v_cndmask_b32_e64 v25, 0xcf000000, v38, s12
	v_cmp_nge_f32_e64 s12, 0xcf000000, v42
	v_mul_f32_e32 v39, v14, v39
	v_cmp_nle_f32_e64 s13, 0x4f000000, v26
	v_cndmask_b32_e64 v54, 0xcf000000, v41, s10
	v_cmp_nle_f32_e64 s10, 0x4f000000, v29
	v_cvt_i32_f32_e32 v29, v56
	v_cndmask_b32_e64 v56, 0xcf000000, v42, s12
	v_cmp_nle_f32_e64 s12, 0x4f000000, v30
	v_cvt_i32_f32_e32 v30, v58
	v_rndne_f32_e32 v39, v39
	v_cvt_i32_f32_e32 v47, v47
	v_cvt_i32_f32_e32 v51, v51
	;; [unrolled: 1-line block ×3, first 2 shown]
	v_cndmask_b32_e64 v30, 0x7fffffff, v30, s13
	v_mul_f32_e32 v43, v14, v43
	v_cmp_nge_f32_e64 s14, 0xcf000000, v39
	v_cvt_i32_f32_e32 v55, v55
	v_cvt_i32_f32_e32 v57, v57
	v_add_nc_u32_e32 v30, s30, v30
	v_rndne_f32_e32 v43, v43
	v_cndmask_b32_e64 v26, 0xcf000000, v39, s14
	v_cvt_i32_f32_e32 v59, v59
	v_cvt_i32_f32_e32 v46, v46
	v_cmp_nle_f32_e64 s2, 0x4f000000, v34
	v_cmp_nge_f32_e64 s14, 0xcf000000, v43
	v_cmp_nle_f32_e64 s3, 0x4f000000, v13
	v_cndmask_b32_e64 v13, 0x7fffffff, v22, s5
	v_cndmask_b32_e64 v22, 0x7fffffff, v51, s4
	v_cvt_i32_f32_e32 v34, v50
	v_cndmask_b32_e64 v58, 0xcf000000, v43, s14
	v_cmp_nle_f32_e64 s14, 0x4f000000, v15
	v_cmp_nle_f32_e64 s4, 0x4f000000, v35
	;; [unrolled: 1-line block ×3, first 2 shown]
	v_cndmask_b32_e64 v27, 0x7fffffff, v27, s7
	v_cndmask_b32_e64 v31, 0x7fffffff, v53, s6
	;; [unrolled: 1-line block ×3, first 2 shown]
	v_cndmask_b32_e32 v19, 0x7fffffff, v45, vcc_lo
	v_cvt_i32_f32_e32 v45, v60
	v_cmp_nle_f32_e32 vcc_lo, 0x4f000000, v32
	v_cvt_i32_f32_e32 v32, v44
	v_cndmask_b32_e64 v44, 0x7fffffff, v47, s0
	v_cmp_nle_f32_e64 s0, 0x4f000000, v33
	v_cvt_i32_f32_e32 v33, v48
	v_cvt_i32_f32_e32 v35, v52
	v_cmp_nle_f32_e64 s6, 0x4f000000, v40
	v_cmp_nle_f32_e64 s7, 0x4f000000, v36
	v_cndmask_b32_e64 v36, 0x7fffffff, v55, s8
	v_cvt_i32_f32_e32 v40, v54
	v_cmp_nle_f32_e64 s8, 0x4f000000, v41
	v_cmp_nle_f32_e64 s9, 0x4f000000, v37
	v_cndmask_b32_e64 v29, 0x7fffffff, v29, s11
	v_cndmask_b32_e64 v37, 0x7fffffff, v57, s10
	v_cvt_i32_f32_e32 v41, v56
	v_cmp_nle_f32_e64 s10, 0x4f000000, v42
	v_cmp_nle_f32_e64 s11, 0x4f000000, v38
	v_cndmask_b32_e64 v38, 0x7fffffff, v59, s12
	v_cvt_i32_f32_e32 v42, v58
	v_cmp_nle_f32_e64 s12, 0x4f000000, v43
	v_cmp_nle_f32_e64 s14, 0x4f000000, v1
	v_add_nc_u32_e32 v1, s44, v19
	v_cndmask_b32_e64 v43, 0x7fffffff, v46, s0
	v_cndmask_b32_e64 v33, 0x7fffffff, v33, s2
	;; [unrolled: 1-line block ×4, first 2 shown]
	v_cndmask_b32_e32 v32, 0x7fffffff, v45, vcc_lo
	v_cndmask_b32_e64 v35, 0x7fffffff, v35, s6
	v_cndmask_b32_e64 v40, 0x7fffffff, v40, s8
	;; [unrolled: 1-line block ×4, first 2 shown]
	v_cvt_i32_f32_e32 v16, v16
	v_cvt_i32_f32_e32 v17, v17
	;; [unrolled: 1-line block ×4, first 2 shown]
	v_cmp_nle_f32_e64 s13, 0x4f000000, v39
	v_add_nc_u32_e32 v39, s44, v44
	v_add_nc_u32_e32 v22, s44, v22
	;; [unrolled: 1-line block ×16, first 2 shown]
	v_cndmask_b32_e64 v16, 0x7fffffff, v16, s1
	v_cndmask_b32_e64 v17, 0x7fffffff, v17, s3
	;; [unrolled: 1-line block ×4, first 2 shown]
	v_med3_i32 v1, v1, s45, 0x7f
	v_add_nc_u32_e32 v19, s30, v19
	v_med3_i32 v39, v39, s45, 0x7f
	v_med3_i32 v21, v21, s45, 0x7f
	;; [unrolled: 1-line block ×16, first 2 shown]
	v_cvt_i32_f32_e32 v24, v24
	v_add_nc_u32_e32 v20, s30, v20
	v_med3_i32 v15, v15, s45, 0x7f
	v_cvt_i32_f32_e32 v25, v25
	v_add_nc_u32_e32 v16, s30, v16
	v_add_nc_u32_e32 v12, s30, v12
	v_cvt_i32_f32_e32 v26, v26
	v_add_nc_u32_e32 v13, s30, v13
	v_add_nc_u32_e32 v17, s30, v17
	;; [unrolled: 1-line block ×4, first 2 shown]
	v_and_b32_e32 v1, 0xff, v1
	v_med3_i32 v19, v19, s45, 0x7f
	v_and_b32_e32 v39, 0xff, v39
	v_and_b32_e32 v21, 0xff, v21
	v_and_b32_e32 v22, 0xff, v22
	v_and_b32_e32 v31, 0xff, v31
	v_and_b32_e32 v36, 0xff, v36
	v_and_b32_e32 v37, 0xff, v37
	v_and_b32_e32 v38, 0xff, v38
	s_clause 0x1
	global_store_b8 v[5:6], v27, off offset:8
	global_store_b8 v[5:6], v15, off
	v_lshlrev_b16 v15, 8, v32
	v_lshlrev_b16 v27, 8, v43
	;; [unrolled: 1-line block ×8, first 2 shown]
	v_cndmask_b32_e64 v24, 0x7fffffff, v24, s9
	v_med3_i32 v20, v20, s45, 0x7f
	v_cndmask_b32_e64 v25, 0x7fffffff, v25, s11
	v_med3_i32 v16, v16, s45, 0x7f
	v_med3_i32 v12, v12, s45, 0x7f
	v_cndmask_b32_e64 v26, 0x7fffffff, v26, s13
	v_med3_i32 v13, v13, s45, 0x7f
	v_med3_i32 v17, v17, s45, 0x7f
	;; [unrolled: 1-line block ×5, first 2 shown]
	s_clause 0x8
	global_store_b8 v[5:6], v19, off offset:1
	global_store_b8 v[5:6], v20, off offset:2
	;; [unrolled: 1-line block ×9, first 2 shown]
	v_or_b32_e32 v1, v1, v15
	v_or_b32_e32 v12, v39, v27
	;; [unrolled: 1-line block ×8, first 2 shown]
	v_add_nc_u32_e32 v29, s30, v29
	v_add_nc_u32_e32 v24, s30, v24
	;; [unrolled: 1-line block ×4, first 2 shown]
	v_and_b32_e32 v15, 0xffff, v15
	v_lshlrev_b32_e32 v16, 16, v16
	v_and_b32_e32 v17, 0xffff, v17
	v_lshlrev_b32_e32 v20, 16, v18
	;; [unrolled: 2-line block ×4, first 2 shown]
	v_med3_i32 v29, v29, s45, 0x7f
	v_med3_i32 v24, v24, s45, 0x7f
	;; [unrolled: 1-line block ×5, first 2 shown]
	v_or_b32_e32 v18, v15, v16
	v_or_b32_e32 v17, v17, v20
	v_or_b32_e32 v16, v13, v19
	v_or_b32_e32 v15, v1, v12
	s_clause 0x5
	global_store_b8 v[5:6], v24, off offset:11
	global_store_b8 v[5:6], v29, off offset:12
	;; [unrolled: 1-line block ×5, first 2 shown]
	global_store_b128 v[7:8], v[15:18], off
	s_and_not1_b32 exec_lo, exec_lo, s43
	s_cbranch_execnz .LBB3_16
; %bb.17:
	s_or_b32 exec_lo, exec_lo, s43
	v_cmp_ne_u32_e32 vcc_lo, v10, v9
	v_add_nc_u32_e32 v9, v0, v9
	s_or_not1_b32 s0, vcc_lo, exec_lo
.LBB3_18:
	s_or_b32 exec_lo, exec_lo, s42
	s_delay_alu instid0(SALU_CYCLE_1)
	s_and_b32 exec_lo, exec_lo, s0
	s_cbranch_execz .LBB3_85
; %bb.19:
	v_mov_b32_e32 v10, 0
	s_add_u32 s0, s26, s24
	s_addc_u32 s1, s27, s25
	s_add_u32 s0, s18, s0
	s_addc_u32 s2, s19, s1
	v_lshlrev_b64 v[1:2], 4, v[9:10]
	v_lshlrev_b64 v[3:4], 5, v[9:10]
	s_lshl_b32 s1, s15, 4
	s_movk_i32 s4, 0xff80
	s_delay_alu instid0(VALU_DEP_2)
	v_add_co_u32 v10, vcc_lo, s0, v1
	s_add_u32 s0, s16, s28
	v_add_co_ci_u32_e32 v11, vcc_lo, s2, v2, vcc_lo
	s_addc_u32 s2, s17, s29
	s_add_u32 s0, s0, s20
	s_addc_u32 s2, s2, s21
	v_add_co_u32 v12, vcc_lo, s0, v3
	v_add_co_ci_u32_e32 v13, vcc_lo, s2, v4, vcc_lo
	s_mov_b32 s2, 0
	s_lshl_b32 s3, s15, 5
	s_branch .LBB3_22
.LBB3_20:                               ;   in Loop: Header=BB3_22 Depth=1
	s_or_b32 exec_lo, exec_lo, s5
.LBB3_21:                               ;   in Loop: Header=BB3_22 Depth=1
	s_delay_alu instid0(SALU_CYCLE_1)
	s_or_b32 exec_lo, exec_lo, s0
	v_add_nc_u32_e32 v4, s30, v23
	v_add_nc_u32_e32 v20, s30, v20
	;; [unrolled: 1-line block ×5, first 2 shown]
	v_med3_i32 v4, v4, s4, 0x7f
	v_med3_i32 v20, v20, s4, 0x7f
	;; [unrolled: 1-line block ×4, first 2 shown]
	v_add_nc_u32_e32 v2, s30, v2
	v_add_nc_u32_e32 v21, s30, v21
	;; [unrolled: 1-line block ×9, first 2 shown]
	v_lshlrev_b16 v3, 8, v3
	v_and_b32_e32 v4, 0xff, v4
	v_lshlrev_b16 v20, 8, v20
	v_and_b32_e32 v8, 0xff, v8
	v_add_nc_u32_e32 v15, s30, v15
	v_add_nc_u32_e32 v16, s30, v16
	v_med3_i32 v22, v22, s4, 0x7f
	v_med3_i32 v2, v2, s4, 0x7f
	;; [unrolled: 1-line block ×10, first 2 shown]
	v_or_b32_e32 v3, v4, v3
	v_or_b32_e32 v4, v8, v20
	v_med3_i32 v8, v15, s4, 0x7f
	v_med3_i32 v15, v16, s4, 0x7f
	v_lshlrev_b16 v22, 8, v22
	v_and_b32_e32 v2, 0xff, v2
	v_and_b32_e32 v16, 0xffff, v4
	v_lshlrev_b16 v4, 8, v21
	v_and_b32_e32 v1, 0xff, v1
	v_lshlrev_b16 v18, 8, v18
	;; [unrolled: 2-line block ×5, first 2 shown]
	v_and_b32_e32 v17, 0xff, v17
	v_or_b32_e32 v2, v2, v22
	v_or_b32_e32 v1, v1, v4
	;; [unrolled: 1-line block ×6, first 2 shown]
	v_and_b32_e32 v2, 0xffff, v2
	v_lshlrev_b32_e32 v3, 16, v3
	v_lshlrev_b32_e32 v1, 16, v1
	v_and_b32_e32 v8, 0xffff, v4
	v_lshlrev_b32_e32 v6, 16, v6
	v_and_b32_e32 v7, 0xffff, v7
	v_lshlrev_b32_e32 v5, 16, v5
	v_or_b32_e32 v4, v2, v3
	v_or_b32_e32 v3, v16, v1
	;; [unrolled: 1-line block ×3, first 2 shown]
	v_add_nc_u32_e32 v9, s15, v9
	v_or_b32_e32 v1, v7, v5
	v_add_co_u32 v12, s0, v12, s3
	s_delay_alu instid0(VALU_DEP_1)
	v_add_co_ci_u32_e64 v13, s0, 0, v13, s0
	global_store_b128 v[10:11], v[1:4], off
	v_add_co_u32 v10, vcc_lo, v10, s1
	v_add_co_ci_u32_e32 v11, vcc_lo, 0, v11, vcc_lo
	v_cmp_le_i32_e32 vcc_lo, s40, v9
	s_or_b32 s2, vcc_lo, s2
	s_delay_alu instid0(SALU_CYCLE_1)
	s_and_not1_b32 exec_lo, exec_lo, s2
	s_cbranch_execz .LBB3_85
.LBB3_22:                               ; =>This Inner Loop Header: Depth=1
	s_clause 0x1
	global_load_b128 v[5:8], v[12:13], off
	global_load_b128 v[1:4], v[12:13], off offset:16
	v_bfrev_b32_e32 v16, -2
	s_mov_b32 s0, exec_lo
	s_waitcnt vmcnt(1)
	v_cvt_f32_f16_e32 v15, v5
	s_delay_alu instid0(VALU_DEP_1) | instskip(NEXT) | instid1(VALU_DEP_1)
	v_mul_f32_e32 v15, v14, v15
	v_rndne_f32_e32 v17, v15
	v_bfrev_b32_e32 v15, -2
	s_delay_alu instid0(VALU_DEP_2)
	v_cmpx_nle_f32_e32 0x4f000000, v17
	s_cbranch_execz .LBB3_26
; %bb.23:                               ;   in Loop: Header=BB3_22 Depth=1
	v_bfrev_b32_e32 v16, 1
	s_mov_b32 s5, exec_lo
	v_cmpx_nge_f32_e32 0xcf000000, v17
; %bb.24:                               ;   in Loop: Header=BB3_22 Depth=1
	v_cvt_i32_f32_e32 v16, v17
; %bb.25:                               ;   in Loop: Header=BB3_22 Depth=1
	s_or_b32 exec_lo, exec_lo, s5
.LBB3_26:                               ;   in Loop: Header=BB3_22 Depth=1
	s_delay_alu instid0(SALU_CYCLE_1) | instskip(SKIP_2) | instid1(VALU_DEP_1)
	s_or_b32 exec_lo, exec_lo, s0
	v_lshrrev_b32_e32 v5, 16, v5
	s_mov_b32 s0, exec_lo
	v_cvt_f32_f16_e32 v5, v5
	s_delay_alu instid0(VALU_DEP_1) | instskip(NEXT) | instid1(VALU_DEP_1)
	v_mul_f32_e32 v5, v14, v5
	v_rndne_f32_e32 v5, v5
	s_delay_alu instid0(VALU_DEP_1)
	v_cmpx_nle_f32_e32 0x4f000000, v5
	s_cbranch_execz .LBB3_30
; %bb.27:                               ;   in Loop: Header=BB3_22 Depth=1
	v_bfrev_b32_e32 v15, 1
	s_mov_b32 s5, exec_lo
	v_cmpx_nge_f32_e32 0xcf000000, v5
; %bb.28:                               ;   in Loop: Header=BB3_22 Depth=1
	v_cvt_i32_f32_e32 v15, v5
; %bb.29:                               ;   in Loop: Header=BB3_22 Depth=1
	s_or_b32 exec_lo, exec_lo, s5
.LBB3_30:                               ;   in Loop: Header=BB3_22 Depth=1
	s_delay_alu instid0(SALU_CYCLE_1) | instskip(SKIP_3) | instid1(VALU_DEP_2)
	s_or_b32 exec_lo, exec_lo, s0
	v_cvt_f32_f16_e32 v5, v6
	v_bfrev_b32_e32 v17, -2
	s_mov_b32 s0, exec_lo
	v_mul_f32_e32 v5, v14, v5
	s_delay_alu instid0(VALU_DEP_1) | instskip(SKIP_1) | instid1(VALU_DEP_2)
	v_rndne_f32_e32 v18, v5
	v_bfrev_b32_e32 v5, -2
	v_cmpx_nle_f32_e32 0x4f000000, v18
	s_cbranch_execz .LBB3_34
; %bb.31:                               ;   in Loop: Header=BB3_22 Depth=1
	v_bfrev_b32_e32 v17, 1
	s_mov_b32 s5, exec_lo
	v_cmpx_nge_f32_e32 0xcf000000, v18
; %bb.32:                               ;   in Loop: Header=BB3_22 Depth=1
	v_cvt_i32_f32_e32 v17, v18
; %bb.33:                               ;   in Loop: Header=BB3_22 Depth=1
	s_or_b32 exec_lo, exec_lo, s5
.LBB3_34:                               ;   in Loop: Header=BB3_22 Depth=1
	s_delay_alu instid0(SALU_CYCLE_1) | instskip(SKIP_2) | instid1(VALU_DEP_1)
	s_or_b32 exec_lo, exec_lo, s0
	v_lshrrev_b32_e32 v6, 16, v6
	s_mov_b32 s0, exec_lo
	v_cvt_f32_f16_e32 v6, v6
	s_delay_alu instid0(VALU_DEP_1) | instskip(NEXT) | instid1(VALU_DEP_1)
	v_mul_f32_e32 v6, v14, v6
	v_rndne_f32_e32 v6, v6
	s_delay_alu instid0(VALU_DEP_1)
	v_cmpx_nle_f32_e32 0x4f000000, v6
	s_cbranch_execz .LBB3_38
; %bb.35:                               ;   in Loop: Header=BB3_22 Depth=1
	v_bfrev_b32_e32 v5, 1
	s_mov_b32 s5, exec_lo
	v_cmpx_nge_f32_e32 0xcf000000, v6
; %bb.36:                               ;   in Loop: Header=BB3_22 Depth=1
	v_cvt_i32_f32_e32 v5, v6
; %bb.37:                               ;   in Loop: Header=BB3_22 Depth=1
	s_or_b32 exec_lo, exec_lo, s5
.LBB3_38:                               ;   in Loop: Header=BB3_22 Depth=1
	s_delay_alu instid0(SALU_CYCLE_1) | instskip(SKIP_3) | instid1(VALU_DEP_2)
	s_or_b32 exec_lo, exec_lo, s0
	v_cvt_f32_f16_e32 v6, v7
	v_bfrev_b32_e32 v18, -2
	s_mov_b32 s0, exec_lo
	v_mul_f32_e32 v6, v14, v6
	s_delay_alu instid0(VALU_DEP_1) | instskip(SKIP_1) | instid1(VALU_DEP_2)
	v_rndne_f32_e32 v19, v6
	v_bfrev_b32_e32 v6, -2
	;; [unrolled: 40-line block ×3, first 2 shown]
	v_cmpx_nle_f32_e32 0x4f000000, v20
	s_cbranch_execz .LBB3_50
; %bb.47:                               ;   in Loop: Header=BB3_22 Depth=1
	v_bfrev_b32_e32 v7, 1
	s_mov_b32 s5, exec_lo
	v_cmpx_nge_f32_e32 0xcf000000, v20
; %bb.48:                               ;   in Loop: Header=BB3_22 Depth=1
	v_cvt_i32_f32_e32 v7, v20
; %bb.49:                               ;   in Loop: Header=BB3_22 Depth=1
	s_or_b32 exec_lo, exec_lo, s5
.LBB3_50:                               ;   in Loop: Header=BB3_22 Depth=1
	s_delay_alu instid0(SALU_CYCLE_1) | instskip(SKIP_2) | instid1(VALU_DEP_1)
	s_or_b32 exec_lo, exec_lo, s0
	v_lshrrev_b32_e32 v8, 16, v8
	s_mov_b32 s0, exec_lo
	v_cvt_f32_f16_e32 v8, v8
	s_delay_alu instid0(VALU_DEP_1) | instskip(NEXT) | instid1(VALU_DEP_1)
	v_mul_f32_e32 v8, v14, v8
	v_rndne_f32_e32 v8, v8
	s_delay_alu instid0(VALU_DEP_1)
	v_cmpx_nle_f32_e32 0x4f000000, v8
	s_cbranch_execz .LBB3_54
; %bb.51:                               ;   in Loop: Header=BB3_22 Depth=1
	v_bfrev_b32_e32 v19, 1
	s_mov_b32 s5, exec_lo
	v_cmpx_nge_f32_e32 0xcf000000, v8
; %bb.52:                               ;   in Loop: Header=BB3_22 Depth=1
	v_cvt_i32_f32_e32 v19, v8
; %bb.53:                               ;   in Loop: Header=BB3_22 Depth=1
	s_or_b32 exec_lo, exec_lo, s5
.LBB3_54:                               ;   in Loop: Header=BB3_22 Depth=1
	s_delay_alu instid0(SALU_CYCLE_1) | instskip(SKIP_4) | instid1(VALU_DEP_2)
	s_or_b32 exec_lo, exec_lo, s0
	s_waitcnt vmcnt(0)
	v_cvt_f32_f16_e32 v8, v1
	v_bfrev_b32_e32 v20, -2
	s_mov_b32 s0, exec_lo
	v_mul_f32_e32 v8, v14, v8
	s_delay_alu instid0(VALU_DEP_1) | instskip(SKIP_1) | instid1(VALU_DEP_2)
	v_rndne_f32_e32 v21, v8
	v_bfrev_b32_e32 v8, -2
	v_cmpx_nle_f32_e32 0x4f000000, v21
	s_cbranch_execz .LBB3_58
; %bb.55:                               ;   in Loop: Header=BB3_22 Depth=1
	v_bfrev_b32_e32 v8, 1
	s_mov_b32 s5, exec_lo
	v_cmpx_nge_f32_e32 0xcf000000, v21
; %bb.56:                               ;   in Loop: Header=BB3_22 Depth=1
	v_cvt_i32_f32_e32 v8, v21
; %bb.57:                               ;   in Loop: Header=BB3_22 Depth=1
	s_or_b32 exec_lo, exec_lo, s5
.LBB3_58:                               ;   in Loop: Header=BB3_22 Depth=1
	s_delay_alu instid0(SALU_CYCLE_1) | instskip(SKIP_2) | instid1(VALU_DEP_1)
	s_or_b32 exec_lo, exec_lo, s0
	v_lshrrev_b32_e32 v1, 16, v1
	s_mov_b32 s0, exec_lo
	v_cvt_f32_f16_e32 v1, v1
	s_delay_alu instid0(VALU_DEP_1) | instskip(NEXT) | instid1(VALU_DEP_1)
	v_mul_f32_e32 v1, v14, v1
	v_rndne_f32_e32 v1, v1
	s_delay_alu instid0(VALU_DEP_1)
	v_cmpx_nle_f32_e32 0x4f000000, v1
	s_cbranch_execz .LBB3_62
; %bb.59:                               ;   in Loop: Header=BB3_22 Depth=1
	v_bfrev_b32_e32 v20, 1
	s_mov_b32 s5, exec_lo
	v_cmpx_nge_f32_e32 0xcf000000, v1
; %bb.60:                               ;   in Loop: Header=BB3_22 Depth=1
	v_cvt_i32_f32_e32 v20, v1
; %bb.61:                               ;   in Loop: Header=BB3_22 Depth=1
	s_or_b32 exec_lo, exec_lo, s5
.LBB3_62:                               ;   in Loop: Header=BB3_22 Depth=1
	s_delay_alu instid0(SALU_CYCLE_1) | instskip(SKIP_3) | instid1(VALU_DEP_2)
	s_or_b32 exec_lo, exec_lo, s0
	v_cvt_f32_f16_e32 v1, v2
	v_bfrev_b32_e32 v21, -2
	s_mov_b32 s0, exec_lo
	v_mul_f32_e32 v1, v14, v1
	s_delay_alu instid0(VALU_DEP_1) | instskip(SKIP_1) | instid1(VALU_DEP_2)
	v_rndne_f32_e32 v22, v1
	v_bfrev_b32_e32 v1, -2
	v_cmpx_nle_f32_e32 0x4f000000, v22
	s_cbranch_execz .LBB3_66
; %bb.63:                               ;   in Loop: Header=BB3_22 Depth=1
	v_bfrev_b32_e32 v1, 1
	s_mov_b32 s5, exec_lo
	v_cmpx_nge_f32_e32 0xcf000000, v22
; %bb.64:                               ;   in Loop: Header=BB3_22 Depth=1
	v_cvt_i32_f32_e32 v1, v22
; %bb.65:                               ;   in Loop: Header=BB3_22 Depth=1
	s_or_b32 exec_lo, exec_lo, s5
.LBB3_66:                               ;   in Loop: Header=BB3_22 Depth=1
	s_delay_alu instid0(SALU_CYCLE_1) | instskip(SKIP_2) | instid1(VALU_DEP_1)
	s_or_b32 exec_lo, exec_lo, s0
	v_lshrrev_b32_e32 v2, 16, v2
	s_mov_b32 s0, exec_lo
	v_cvt_f32_f16_e32 v2, v2
	s_delay_alu instid0(VALU_DEP_1) | instskip(NEXT) | instid1(VALU_DEP_1)
	v_mul_f32_e32 v2, v14, v2
	v_rndne_f32_e32 v2, v2
	s_delay_alu instid0(VALU_DEP_1)
	v_cmpx_nle_f32_e32 0x4f000000, v2
	s_cbranch_execz .LBB3_70
; %bb.67:                               ;   in Loop: Header=BB3_22 Depth=1
	v_bfrev_b32_e32 v21, 1
	s_mov_b32 s5, exec_lo
	v_cmpx_nge_f32_e32 0xcf000000, v2
; %bb.68:                               ;   in Loop: Header=BB3_22 Depth=1
	v_cvt_i32_f32_e32 v21, v2
; %bb.69:                               ;   in Loop: Header=BB3_22 Depth=1
	s_or_b32 exec_lo, exec_lo, s5
.LBB3_70:                               ;   in Loop: Header=BB3_22 Depth=1
	s_delay_alu instid0(SALU_CYCLE_1) | instskip(SKIP_3) | instid1(VALU_DEP_2)
	s_or_b32 exec_lo, exec_lo, s0
	;; [unrolled: 40-line block ×3, first 2 shown]
	v_cvt_f32_f16_e32 v3, v4
	v_bfrev_b32_e32 v23, -2
	s_mov_b32 s0, exec_lo
	v_mul_f32_e32 v3, v14, v3
	s_delay_alu instid0(VALU_DEP_1) | instskip(SKIP_1) | instid1(VALU_DEP_2)
	v_rndne_f32_e32 v24, v3
	v_bfrev_b32_e32 v3, -2
	v_cmpx_nle_f32_e32 0x4f000000, v24
	s_cbranch_execz .LBB3_82
; %bb.79:                               ;   in Loop: Header=BB3_22 Depth=1
	v_bfrev_b32_e32 v23, 1
	s_mov_b32 s5, exec_lo
	v_cmpx_nge_f32_e32 0xcf000000, v24
; %bb.80:                               ;   in Loop: Header=BB3_22 Depth=1
	v_cvt_i32_f32_e32 v23, v24
; %bb.81:                               ;   in Loop: Header=BB3_22 Depth=1
	s_or_b32 exec_lo, exec_lo, s5
.LBB3_82:                               ;   in Loop: Header=BB3_22 Depth=1
	s_delay_alu instid0(SALU_CYCLE_1) | instskip(SKIP_2) | instid1(VALU_DEP_1)
	s_or_b32 exec_lo, exec_lo, s0
	v_lshrrev_b32_e32 v4, 16, v4
	s_mov_b32 s0, exec_lo
	v_cvt_f32_f16_e32 v4, v4
	s_delay_alu instid0(VALU_DEP_1) | instskip(NEXT) | instid1(VALU_DEP_1)
	v_mul_f32_e32 v4, v14, v4
	v_rndne_f32_e32 v4, v4
	s_delay_alu instid0(VALU_DEP_1)
	v_cmpx_nle_f32_e32 0x4f000000, v4
	s_cbranch_execz .LBB3_21
; %bb.83:                               ;   in Loop: Header=BB3_22 Depth=1
	v_bfrev_b32_e32 v3, 1
	s_mov_b32 s5, exec_lo
	v_cmpx_nge_f32_e32 0xcf000000, v4
	s_cbranch_execz .LBB3_20
; %bb.84:                               ;   in Loop: Header=BB3_22 Depth=1
	v_cvt_i32_f32_e32 v3, v4
	s_branch .LBB3_20
.LBB3_85:
	s_or_b32 exec_lo, exec_lo, s41
	v_lshl_add_u32 v1, s40, 4, v0
	s_mov_b32 s1, exec_lo
	s_delay_alu instid0(VALU_DEP_1)
	v_cmpx_gt_i32_e64 s35, v1
	s_cbranch_execz .LBB3_97
; %bb.86:
	v_cvt_f32_u32_e32 v2, s15
	s_sub_i32 s0, 0, s15
	v_add_nc_u32_e32 v4, s15, v1
	s_cmp_eq_u32 s15, 1
	s_mov_b32 s3, 0
	v_rcp_iflag_f32_e32 v2, v2
	s_delay_alu instid0(VALU_DEP_1) | instskip(SKIP_3) | instid1(VALU_DEP_1)
	v_cmp_gt_i32_e32 vcc_lo, s35, v4
	v_max_i32_e32 v5, s35, v4
	s_waitcnt_depctr 0xfff
	v_mul_f32_e32 v2, 0x4f7ffffe, v2
	v_cvt_u32_f32_e32 v2, v2
	s_delay_alu instid0(VALU_DEP_1) | instskip(SKIP_1) | instid1(VALU_DEP_1)
	v_mul_lo_u32 v3, s0, v2
	v_add_co_ci_u32_e64 v4, s0, s15, v1, vcc_lo
	v_sub_nc_u32_e32 v4, v5, v4
	s_delay_alu instid0(VALU_DEP_3) | instskip(NEXT) | instid1(VALU_DEP_1)
	v_mul_hi_u32 v3, v2, v3
	v_add_nc_u32_e32 v2, v2, v3
	s_delay_alu instid0(VALU_DEP_1) | instskip(NEXT) | instid1(VALU_DEP_1)
	v_mul_hi_u32 v2, v4, v2
	v_mul_lo_u32 v3, v2, s15
	s_delay_alu instid0(VALU_DEP_1) | instskip(SKIP_1) | instid1(VALU_DEP_2)
	v_sub_nc_u32_e32 v3, v4, v3
	v_add_nc_u32_e32 v4, 1, v2
	v_subrev_nc_u32_e32 v5, s15, v3
	v_cmp_le_u32_e64 s0, s15, v3
	s_delay_alu instid0(VALU_DEP_1) | instskip(NEXT) | instid1(VALU_DEP_3)
	v_cndmask_b32_e64 v2, v2, v4, s0
	v_cndmask_b32_e64 v3, v3, v5, s0
	s_delay_alu instid0(VALU_DEP_2) | instskip(NEXT) | instid1(VALU_DEP_2)
	v_add_nc_u32_e32 v4, 1, v2
	v_cmp_le_u32_e64 s0, s15, v3
	s_delay_alu instid0(VALU_DEP_1) | instskip(SKIP_1) | instid1(VALU_DEP_1)
	v_cndmask_b32_e64 v2, v2, v4, s0
	s_cselect_b32 s0, -1, 0
	v_add_co_ci_u32_e32 v4, vcc_lo, 1, v2, vcc_lo
	s_delay_alu instid0(VALU_DEP_1)
	v_cmp_lt_u32_e32 vcc_lo, 1, v4
	s_and_b32 s4, vcc_lo, s0
	s_mov_b32 s0, -1
	s_and_saveexec_b32 s2, s4
	s_cbranch_execz .LBB3_90
; %bb.87:
	v_dual_mov_b32 v2, v1 :: v_dual_and_b32 v5, -2, v4
	s_mov_b32 s4, s30
	s_movk_i32 s5, 0xff80
	s_delay_alu instid0(VALU_DEP_1)
	v_mov_b32_e32 v6, v5
.LBB3_88:                               ; =>This Inner Loop Header: Depth=1
	s_delay_alu instid0(VALU_DEP_2) | instskip(NEXT) | instid1(VALU_DEP_2)
	v_ashrrev_i32_e32 v3, 31, v2
	v_add_nc_u32_e32 v6, -2, v6
	s_delay_alu instid0(VALU_DEP_2) | instskip(NEXT) | instid1(VALU_DEP_1)
	v_lshlrev_b64 v[7:8], 1, v[2:3]
	v_add_co_u32 v7, vcc_lo, s36, v7
	s_delay_alu instid0(VALU_DEP_2) | instskip(SKIP_4) | instid1(VALU_DEP_2)
	v_add_co_ci_u32_e32 v8, vcc_lo, s37, v8, vcc_lo
	global_load_b32 v7, v[7:8], off
	s_waitcnt vmcnt(0)
	v_lshrrev_b32_e32 v8, 16, v7
	v_cvt_f32_f16_e32 v7, v7
	v_cvt_f32_f16_e32 v8, v8
	s_delay_alu instid0(VALU_DEP_1) | instskip(NEXT) | instid1(VALU_DEP_1)
	v_mul_f32_e32 v8, v14, v8
	v_rndne_f32_e32 v8, v8
	s_delay_alu instid0(VALU_DEP_4) | instskip(NEXT) | instid1(VALU_DEP_1)
	v_mul_f32_e32 v7, v14, v7
	v_rndne_f32_e32 v7, v7
	s_delay_alu instid0(VALU_DEP_1) | instskip(SKIP_2) | instid1(VALU_DEP_2)
	v_cmp_nge_f32_e32 vcc_lo, 0xcf000000, v7
	v_cndmask_b32_e32 v9, 0xcf000000, v7, vcc_lo
	v_cmp_nge_f32_e32 vcc_lo, 0xcf000000, v8
	v_cvt_i32_f32_e32 v9, v9
	v_cndmask_b32_e32 v10, 0xcf000000, v8, vcc_lo
	v_cmp_nle_f32_e32 vcc_lo, 0x4f000000, v7
	s_delay_alu instid0(VALU_DEP_2) | instskip(NEXT) | instid1(VALU_DEP_4)
	v_cvt_i32_f32_e32 v10, v10
	v_cndmask_b32_e32 v7, 0x7fffffff, v9, vcc_lo
	v_cmp_nle_f32_e32 vcc_lo, 0x4f000000, v8
	s_delay_alu instid0(VALU_DEP_2) | instskip(NEXT) | instid1(VALU_DEP_4)
	v_add_nc_u32_e32 v7, s30, v7
	v_cndmask_b32_e32 v8, 0x7fffffff, v10, vcc_lo
	v_cmp_eq_u32_e32 vcc_lo, 0, v6
	s_delay_alu instid0(VALU_DEP_3) | instskip(NEXT) | instid1(VALU_DEP_3)
	v_med3_i32 v7, v7, s5, 0x7f
	v_add_nc_u32_e32 v8, s4, v8
	s_or_b32 s3, vcc_lo, s3
	s_delay_alu instid0(VALU_DEP_2) | instskip(NEXT) | instid1(VALU_DEP_2)
	v_and_b32_e32 v9, 0xff, v7
	v_med3_i32 v8, v8, s5, 0x7f
	v_add_co_u32 v7, s0, s38, v2
	v_add_nc_u32_e32 v2, 2, v2
	s_delay_alu instid0(VALU_DEP_3) | instskip(SKIP_1) | instid1(VALU_DEP_2)
	v_lshlrev_b16 v10, 8, v8
	v_add_co_ci_u32_e64 v8, s0, s39, v3, s0
	v_or_b32_e32 v3, v9, v10
	global_store_b16 v[7:8], v3, off
	s_and_not1_b32 exec_lo, exec_lo, s3
	s_cbranch_execnz .LBB3_88
; %bb.89:
	s_or_b32 exec_lo, exec_lo, s3
	v_cmp_ne_u32_e32 vcc_lo, v4, v5
	v_add_nc_u32_e32 v1, v1, v5
	s_or_not1_b32 s0, vcc_lo, exec_lo
.LBB3_90:
	s_or_b32 exec_lo, exec_lo, s2
	s_delay_alu instid0(SALU_CYCLE_1)
	s_and_b32 exec_lo, exec_lo, s0
	s_cbranch_execz .LBB3_97
; %bb.91:
	v_ashrrev_i32_e32 v2, 31, v1
	s_add_u32 s0, s20, s28
	s_addc_u32 s2, s21, s29
	s_add_u32 s0, s16, s0
	s_addc_u32 s2, s17, s2
	v_lshlrev_b64 v[3:4], 1, v[1:2]
	s_lshl_b32 s4, s15, 1
	s_add_u32 s3, s26, s24
	s_mov_b32 s5, 0
	s_movk_i32 s6, 0xff80
	s_delay_alu instid0(VALU_DEP_1)
	v_add_co_u32 v3, vcc_lo, s0, v3
	s_addc_u32 s0, s27, s25
	v_add_co_ci_u32_e32 v4, vcc_lo, s2, v4, vcc_lo
	s_add_u32 s2, s18, s3
	s_addc_u32 s0, s19, s0
	v_add_co_u32 v5, vcc_lo, s2, v1
	v_add_co_ci_u32_e32 v2, vcc_lo, s0, v2, vcc_lo
	s_mov_b64 s[2:3], 0
	s_set_inst_prefetch_distance 0x1
	s_branch .LBB3_94
	.p2align	6
.LBB3_92:                               ;   in Loop: Header=BB3_94 Depth=1
	s_or_b32 exec_lo, exec_lo, s7
.LBB3_93:                               ;   in Loop: Header=BB3_94 Depth=1
	s_delay_alu instid0(SALU_CYCLE_1)
	s_or_b32 exec_lo, exec_lo, s0
	v_add_co_u32 v7, vcc_lo, v5, s2
	s_add_u32 s2, s2, s15
	v_add_nc_u32_e32 v6, s30, v6
	v_add_nc_u32_e32 v9, s2, v1
	v_add_co_ci_u32_e32 v8, vcc_lo, s3, v2, vcc_lo
	v_add_co_u32 v3, s0, v3, s4
	s_delay_alu instid0(VALU_DEP_3)
	v_cmp_le_i32_e32 vcc_lo, s35, v9
	v_med3_i32 v6, v6, s6, 0x7f
	v_add_co_ci_u32_e64 v4, s0, 0, v4, s0
	s_addc_u32 s3, s3, 0
	s_or_b32 s5, vcc_lo, s5
	global_store_b8 v[7:8], v6, off
	s_and_not1_b32 exec_lo, exec_lo, s5
	s_cbranch_execz .LBB3_97
.LBB3_94:                               ; =>This Inner Loop Header: Depth=1
	global_load_u16 v6, v[3:4], off
	s_mov_b32 s0, exec_lo
	s_waitcnt vmcnt(0)
	v_cvt_f32_f16_e32 v6, v6
	s_delay_alu instid0(VALU_DEP_1) | instskip(NEXT) | instid1(VALU_DEP_1)
	v_mul_f32_e32 v6, v14, v6
	v_rndne_f32_e32 v7, v6
	v_bfrev_b32_e32 v6, -2
	s_delay_alu instid0(VALU_DEP_2)
	v_cmpx_nle_f32_e32 0x4f000000, v7
	s_cbranch_execz .LBB3_93
; %bb.95:                               ;   in Loop: Header=BB3_94 Depth=1
	v_bfrev_b32_e32 v6, 1
	s_mov_b32 s7, exec_lo
	v_cmpx_nge_f32_e32 0xcf000000, v7
	s_cbranch_execz .LBB3_92
; %bb.96:                               ;   in Loop: Header=BB3_94 Depth=1
	v_cvt_i32_f32_e32 v6, v7
	s_branch .LBB3_92
.LBB3_97:
	s_set_inst_prefetch_distance 0x2
	s_or_b32 exec_lo, exec_lo, s1
	s_mov_b32 s0, 0
.LBB3_98:
	s_delay_alu instid0(SALU_CYCLE_1)
	s_and_b32 vcc_lo, exec_lo, s0
	s_cbranch_vccz .LBB3_171
; %bb.99:
	s_ashr_i32 s26, s34, 4
	s_mov_b32 s0, exec_lo
	v_cmpx_gt_i32_e64 s26, v0
	s_cbranch_execz .LBB3_171
; %bb.100:
	v_cvt_f32_u32_e32 v1, s15
	s_sub_i32 s0, 0, s15
	v_add_nc_u32_e32 v3, s15, v0
	s_cmp_eq_u32 s15, 1
	s_mov_b32 s28, 0
	v_rcp_iflag_f32_e32 v1, v1
	s_delay_alu instid0(VALU_DEP_1) | instskip(SKIP_3) | instid1(VALU_DEP_1)
	v_cmp_gt_i32_e32 vcc_lo, s26, v3
	v_max_i32_e32 v4, s26, v3
	s_waitcnt_depctr 0xfff
	v_mul_f32_e32 v1, 0x4f7ffffe, v1
	v_cvt_u32_f32_e32 v1, v1
	s_delay_alu instid0(VALU_DEP_1) | instskip(SKIP_1) | instid1(VALU_DEP_1)
	v_mul_lo_u32 v2, s0, v1
	v_add_co_ci_u32_e64 v3, s0, s15, v0, vcc_lo
	v_sub_nc_u32_e32 v3, v4, v3
	s_delay_alu instid0(VALU_DEP_3) | instskip(NEXT) | instid1(VALU_DEP_1)
	v_mul_hi_u32 v2, v1, v2
	v_add_nc_u32_e32 v1, v1, v2
	s_delay_alu instid0(VALU_DEP_1) | instskip(NEXT) | instid1(VALU_DEP_1)
	v_mul_hi_u32 v1, v3, v1
	v_mul_lo_u32 v2, v1, s15
	s_delay_alu instid0(VALU_DEP_1) | instskip(SKIP_1) | instid1(VALU_DEP_2)
	v_sub_nc_u32_e32 v2, v3, v2
	v_add_nc_u32_e32 v3, 1, v1
	v_subrev_nc_u32_e32 v4, s15, v2
	v_cmp_le_u32_e64 s0, s15, v2
	s_delay_alu instid0(VALU_DEP_1) | instskip(NEXT) | instid1(VALU_DEP_3)
	v_cndmask_b32_e64 v1, v1, v3, s0
	v_cndmask_b32_e64 v2, v2, v4, s0
	s_delay_alu instid0(VALU_DEP_2) | instskip(NEXT) | instid1(VALU_DEP_2)
	v_add_nc_u32_e32 v3, 1, v1
	v_cmp_le_u32_e64 s0, s15, v2
	s_delay_alu instid0(VALU_DEP_1) | instskip(SKIP_1) | instid1(VALU_DEP_1)
	v_cndmask_b32_e64 v1, v1, v3, s0
	s_cselect_b32 s0, -1, 0
	v_add_co_ci_u32_e32 v9, vcc_lo, 1, v1, vcc_lo
	s_delay_alu instid0(VALU_DEP_1)
	v_cmp_lt_u32_e32 vcc_lo, 1, v9
	s_and_b32 s1, vcc_lo, s0
	s_mov_b32 s0, -1
	s_and_saveexec_b32 s27, s1
	s_cbranch_execz .LBB3_104
; %bb.101:
	v_dual_mov_b32 v2, 0 :: v_dual_add_nc_u32 v1, 1, v0
	v_and_b32_e32 v10, -2, v9
	s_mov_b32 s29, s30
	s_movk_i32 s34, 0xff80
	s_delay_alu instid0(VALU_DEP_2) | instskip(NEXT) | instid1(VALU_DEP_2)
	v_dual_mov_b32 v4, v1 :: v_dual_mov_b32 v3, v0
	v_mov_b32_e32 v11, v10
.LBB3_102:                              ; =>This Inner Loop Header: Depth=1
	s_delay_alu instid0(VALU_DEP_2) | instskip(NEXT) | instid1(VALU_DEP_2)
	v_dual_mov_b32 v1, v3 :: v_dual_mov_b32 v6, v2
	v_add_nc_u32_e32 v11, -2, v11
	s_delay_alu instid0(VALU_DEP_4) | instskip(NEXT) | instid1(VALU_DEP_3)
	v_dual_mov_b32 v5, v4 :: v_dual_add_nc_u32 v4, 2, v4
	v_lshlrev_b64 v[7:8], 5, v[1:2]
	v_lshlrev_b64 v[15:16], 4, v[1:2]
	s_delay_alu instid0(VALU_DEP_4) | instskip(NEXT) | instid1(VALU_DEP_4)
	v_cmp_eq_u32_e32 vcc_lo, 0, v11
	v_lshlrev_b64 v[12:13], 5, v[5:6]
	v_lshlrev_b64 v[17:18], 4, v[5:6]
	s_or_b32 s28, vcc_lo, s28
	v_add_co_u32 v23, vcc_lo, s31, v7
	v_add_co_ci_u32_e32 v24, vcc_lo, s33, v8, vcc_lo
	s_delay_alu instid0(VALU_DEP_4)
	v_add_co_u32 v12, vcc_lo, s31, v12
	v_add_co_ci_u32_e32 v13, vcc_lo, s33, v13, vcc_lo
	v_add_co_u32 v5, vcc_lo, s22, v15
	v_add_co_ci_u32_e32 v6, vcc_lo, s23, v16, vcc_lo
	;; [unrolled: 2-line block ×3, first 2 shown]
	s_clause 0x3
	global_load_b128 v[15:18], v[23:24], off
	global_load_b128 v[19:22], v[12:13], off
	global_load_b128 v[23:26], v[23:24], off offset:16
	global_load_b128 v[27:30], v[12:13], off offset:16
	s_waitcnt vmcnt(3)
	v_lshrrev_b32_e32 v31, 16, v18
	s_waitcnt vmcnt(2)
	v_lshrrev_b32_e32 v33, 16, v20
	v_cvt_f32_f16_e32 v20, v20
	v_cvt_f32_f16_e32 v18, v18
	v_lshrrev_b32_e32 v13, 16, v17
	v_cvt_f32_f16_e32 v17, v17
	v_lshrrev_b32_e32 v1, 16, v15
	v_mul_f32_e32 v20, v14, v20
	v_lshrrev_b32_e32 v12, 16, v16
	v_cvt_f32_f16_e32 v15, v15
	v_cvt_f32_f16_e32 v16, v16
	v_add_nc_u32_e32 v3, 2, v3
	v_rndne_f32_e32 v20, v20
	v_mul_f32_e32 v18, v14, v18
	v_lshrrev_b32_e32 v32, 16, v19
	v_cvt_f32_f16_e32 v19, v19
	v_mul_f32_e32 v16, v14, v16
	v_lshrrev_b32_e32 v34, 16, v21
	v_rndne_f32_e32 v18, v18
	v_mul_f32_e32 v17, v14, v17
	v_cvt_f32_f16_e32 v21, v21
	v_rndne_f32_e32 v16, v16
	v_mul_f32_e32 v19, v14, v19
	v_lshrrev_b32_e32 v35, 16, v22
	v_rndne_f32_e32 v17, v17
	v_mul_f32_e32 v15, v14, v15
	v_cvt_f32_f16_e32 v22, v22
	v_rndne_f32_e32 v19, v19
	s_waitcnt vmcnt(0)
	v_lshrrev_b32_e32 v41, 16, v28
	v_cvt_f32_f16_e32 v28, v28
	v_rndne_f32_e32 v15, v15
	v_lshrrev_b32_e32 v39, 16, v26
	v_cvt_f32_f16_e32 v26, v26
	v_lshrrev_b32_e32 v38, 16, v25
	v_cvt_f32_f16_e32 v25, v25
	v_cmp_nge_f32_e32 vcc_lo, 0xcf000000, v15
	v_mul_f32_e32 v21, v14, v21
	v_lshrrev_b32_e32 v36, 16, v23
	v_lshrrev_b32_e32 v37, 16, v24
	v_cvt_f32_f16_e32 v23, v23
	v_cndmask_b32_e32 v44, 0xcf000000, v15, vcc_lo
	v_cmp_nge_f32_e32 vcc_lo, 0xcf000000, v19
	v_mul_f32_e32 v22, v14, v22
	v_rndne_f32_e32 v21, v21
	v_cvt_f32_f16_e32 v24, v24
	v_lshrrev_b32_e32 v40, 16, v27
	v_cndmask_b32_e32 v45, 0xcf000000, v19, vcc_lo
	v_cmp_nge_f32_e32 vcc_lo, 0xcf000000, v16
	v_rndne_f32_e32 v22, v22
	v_cvt_f32_f16_e32 v27, v27
	v_lshrrev_b32_e32 v42, 16, v29
	v_cvt_f32_f16_e32 v29, v29
	v_cndmask_b32_e32 v46, 0xcf000000, v16, vcc_lo
	v_cmp_nge_f32_e32 vcc_lo, 0xcf000000, v20
	v_lshrrev_b32_e32 v43, 16, v30
	v_cvt_f32_f16_e32 v30, v30
	v_cvt_f32_f16_e32 v32, v32
	;; [unrolled: 1-line block ×3, first 2 shown]
	v_cndmask_b32_e32 v47, 0xcf000000, v20, vcc_lo
	v_cmp_nge_f32_e32 vcc_lo, 0xcf000000, v17
	v_cvt_f32_f16_e32 v12, v12
	v_cvt_f32_f16_e32 v33, v33
	;; [unrolled: 1-line block ×4, first 2 shown]
	v_cndmask_b32_e32 v48, 0xcf000000, v17, vcc_lo
	v_cmp_nge_f32_e32 vcc_lo, 0xcf000000, v21
	v_mul_f32_e32 v28, v14, v28
	v_cvt_f32_f16_e32 v36, v36
	v_mul_f32_e32 v1, v14, v1
	v_cvt_f32_f16_e32 v34, v34
	v_cndmask_b32_e32 v49, 0xcf000000, v21, vcc_lo
	v_rndne_f32_e32 v28, v28
	v_mul_f32_e32 v26, v14, v26
	v_cmp_nge_f32_e32 vcc_lo, 0xcf000000, v18
	v_cvt_f32_f16_e32 v35, v35
	v_cvt_f32_f16_e32 v40, v40
	v_mul_f32_e32 v33, v14, v33
	v_rndne_f32_e32 v26, v26
	v_dual_mul_f32 v25, v14, v25 :: v_dual_cndmask_b32 v50, 0xcf000000, v18
	v_cmp_nge_f32_e32 vcc_lo, 0xcf000000, v22
	v_mul_f32_e32 v24, v14, v24
	v_mul_f32_e32 v13, v14, v13
	s_delay_alu instid0(VALU_DEP_4)
	v_rndne_f32_e32 v25, v25
	v_mul_f32_e32 v23, v14, v23
	v_cndmask_b32_e32 v51, 0xcf000000, v22, vcc_lo
	v_rndne_f32_e32 v24, v24
	v_mul_f32_e32 v27, v14, v27
	v_mul_f32_e32 v31, v14, v31
	v_rndne_f32_e32 v23, v23
	v_mul_f32_e32 v36, v14, v36
	v_rndne_f32_e32 v1, v1
	v_rndne_f32_e32 v27, v27
	v_mul_f32_e32 v35, v14, v35
	v_cmp_nge_f32_e32 vcc_lo, 0xcf000000, v23
	v_mul_f32_e32 v29, v14, v29
	v_mul_f32_e32 v40, v14, v40
	v_rndne_f32_e32 v33, v33
	v_rndne_f32_e32 v13, v13
	v_cndmask_b32_e32 v52, 0xcf000000, v23, vcc_lo
	v_cmp_nge_f32_e32 vcc_lo, 0xcf000000, v27
	v_mul_f32_e32 v30, v14, v30
	v_rndne_f32_e32 v29, v29
	v_rndne_f32_e32 v31, v31
	;; [unrolled: 1-line block ×3, first 2 shown]
	v_cndmask_b32_e32 v53, 0xcf000000, v27, vcc_lo
	v_cmp_nge_f32_e32 vcc_lo, 0xcf000000, v24
	v_rndne_f32_e32 v30, v30
	v_cvt_i32_f32_e32 v45, v45
	v_cmp_nge_f32_e64 s0, 0xcf000000, v1
	v_rndne_f32_e32 v35, v35
	v_cndmask_b32_e32 v54, 0xcf000000, v24, vcc_lo
	v_cmp_nge_f32_e32 vcc_lo, 0xcf000000, v28
	v_rndne_f32_e32 v40, v40
	v_cmp_nle_f32_e64 s1, 0x4f000000, v16
	v_cmp_nge_f32_e64 s4, 0xcf000000, v13
	v_cmp_nge_f32_e64 s6, 0xcf000000, v31
	v_cndmask_b32_e32 v55, 0xcf000000, v28, vcc_lo
	v_cmp_nge_f32_e32 vcc_lo, 0xcf000000, v25
	v_cmp_nge_f32_e64 s8, 0xcf000000, v36
	v_cvt_f32_f16_e32 v37, v37
	v_cvt_f32_f16_e32 v38, v38
	v_cvt_i32_f32_e32 v49, v49
	v_cndmask_b32_e32 v56, 0xcf000000, v25, vcc_lo
	v_cmp_nge_f32_e32 vcc_lo, 0xcf000000, v29
	v_mul_f32_e32 v32, v14, v32
	v_cmp_nle_f32_e64 s3, 0x4f000000, v17
	v_cndmask_b32_e64 v17, 0xcf000000, v13, s4
	v_cmp_nle_f32_e64 s5, 0x4f000000, v18
	v_cndmask_b32_e32 v57, 0xcf000000, v29, vcc_lo
	v_cmp_nge_f32_e32 vcc_lo, 0xcf000000, v26
	v_rndne_f32_e32 v32, v32
	v_cndmask_b32_e64 v18, 0xcf000000, v31, s6
	v_cmp_nge_f32_e64 s6, 0xcf000000, v35
	v_cmp_nle_f32_e64 s7, 0x4f000000, v23
	v_cndmask_b32_e32 v58, 0xcf000000, v26, vcc_lo
	v_cmp_nge_f32_e32 vcc_lo, 0xcf000000, v30
	v_mul_f32_e32 v12, v14, v12
	v_cndmask_b32_e64 v23, 0xcf000000, v36, s8
	v_cmp_nge_f32_e64 s8, 0xcf000000, v40
	v_cvt_f32_f16_e32 v41, v41
	v_cndmask_b32_e32 v59, 0xcf000000, v30, vcc_lo
	v_rndne_f32_e32 v12, v12
	v_cmp_nle_f32_e32 vcc_lo, 0x4f000000, v19
	v_mul_f32_e32 v34, v14, v34
	v_cvt_i32_f32_e32 v19, v44
	v_cndmask_b32_e64 v44, 0xcf000000, v1, s0
	v_cmp_nge_f32_e64 s2, 0xcf000000, v12
	v_cmp_nge_f32_e64 s0, 0xcf000000, v32
	v_rndne_f32_e32 v34, v34
	v_cvt_f32_f16_e32 v42, v42
	v_mul_f32_e32 v37, v14, v37
	v_cndmask_b32_e64 v16, 0xcf000000, v12, s2
	v_cmp_nge_f32_e64 s2, 0xcf000000, v33
	v_cndmask_b32_e64 v60, 0xcf000000, v32, s0
	v_cmp_nle_f32_e64 s0, 0x4f000000, v20
	v_cvt_i32_f32_e32 v20, v46
	v_cmp_nge_f32_e64 s4, 0xcf000000, v34
	v_cndmask_b32_e64 v46, 0xcf000000, v33, s2
	v_cmp_nle_f32_e64 s2, 0x4f000000, v21
	v_cvt_i32_f32_e32 v21, v48
	v_cmp_nle_f32_e64 s9, 0x4f000000, v24
	v_cndmask_b32_e64 v48, 0xcf000000, v34, s4
	v_cmp_nle_f32_e64 s4, 0x4f000000, v22
	v_cvt_i32_f32_e32 v22, v50
	v_cndmask_b32_e64 v50, 0xcf000000, v35, s6
	v_cmp_nle_f32_e64 s6, 0x4f000000, v27
	v_cvt_i32_f32_e32 v27, v52
	;; [unrolled: 3-line block ×3, first 2 shown]
	v_cndmask_b32_e64 v20, 0x7fffffff, v20, s1
	v_cmp_nle_f32_e64 s1, 0x4f000000, v12
	v_cndmask_b32_e64 v12, 0x7fffffff, v21, s3
	v_cndmask_b32_e64 v21, 0x7fffffff, v49, s2
	v_mul_f32_e32 v38, v14, v38
	v_mul_f32_e32 v42, v14, v42
	v_rndne_f32_e32 v37, v37
	v_cndmask_b32_e64 v28, 0x7fffffff, v28, s9
	v_mul_f32_e32 v41, v14, v41
	v_add_nc_u32_e32 v21, s29, v21
	v_rndne_f32_e32 v38, v38
	v_rndne_f32_e32 v42, v42
	v_add_nc_u32_e32 v28, s30, v28
	v_rndne_f32_e32 v41, v41
	v_cmp_nge_f32_e64 s10, 0xcf000000, v37
	v_cmp_nge_f32_e64 s12, 0xcf000000, v38
	v_cvt_f32_f16_e32 v39, v39
	v_cmp_nle_f32_e64 s11, 0x4f000000, v25
	v_cvt_f32_f16_e32 v43, v43
	v_cndmask_b32_e64 v24, 0xcf000000, v37, s10
	v_cmp_nge_f32_e64 s10, 0xcf000000, v41
	v_cndmask_b32_e64 v25, 0xcf000000, v38, s12
	v_cmp_nge_f32_e64 s12, 0xcf000000, v42
	v_mul_f32_e32 v39, v14, v39
	v_cmp_nle_f32_e64 s13, 0x4f000000, v26
	v_cndmask_b32_e64 v54, 0xcf000000, v41, s10
	v_cmp_nle_f32_e64 s10, 0x4f000000, v29
	v_cvt_i32_f32_e32 v29, v56
	v_cndmask_b32_e64 v56, 0xcf000000, v42, s12
	v_cmp_nle_f32_e64 s12, 0x4f000000, v30
	v_cvt_i32_f32_e32 v30, v58
	v_rndne_f32_e32 v39, v39
	v_cvt_i32_f32_e32 v47, v47
	v_cvt_i32_f32_e32 v51, v51
	;; [unrolled: 1-line block ×3, first 2 shown]
	v_cndmask_b32_e64 v30, 0x7fffffff, v30, s13
	v_mul_f32_e32 v43, v14, v43
	v_cmp_nge_f32_e64 s14, 0xcf000000, v39
	v_cvt_i32_f32_e32 v55, v55
	v_cvt_i32_f32_e32 v57, v57
	v_add_nc_u32_e32 v30, s30, v30
	v_rndne_f32_e32 v43, v43
	v_cndmask_b32_e64 v26, 0xcf000000, v39, s14
	v_cvt_i32_f32_e32 v59, v59
	v_cvt_i32_f32_e32 v46, v46
	v_cmp_nle_f32_e64 s2, 0x4f000000, v34
	v_cmp_nge_f32_e64 s14, 0xcf000000, v43
	v_cmp_nle_f32_e64 s3, 0x4f000000, v13
	v_cndmask_b32_e64 v13, 0x7fffffff, v22, s5
	v_cndmask_b32_e64 v22, 0x7fffffff, v51, s4
	v_cvt_i32_f32_e32 v34, v50
	v_cndmask_b32_e64 v58, 0xcf000000, v43, s14
	v_cmp_nle_f32_e64 s14, 0x4f000000, v15
	v_cmp_nle_f32_e64 s4, 0x4f000000, v35
	;; [unrolled: 1-line block ×3, first 2 shown]
	v_cndmask_b32_e64 v27, 0x7fffffff, v27, s7
	v_cndmask_b32_e64 v31, 0x7fffffff, v53, s6
	;; [unrolled: 1-line block ×3, first 2 shown]
	v_cndmask_b32_e32 v19, 0x7fffffff, v45, vcc_lo
	v_cvt_i32_f32_e32 v45, v60
	v_cmp_nle_f32_e32 vcc_lo, 0x4f000000, v32
	v_cvt_i32_f32_e32 v32, v44
	v_cndmask_b32_e64 v44, 0x7fffffff, v47, s0
	v_cmp_nle_f32_e64 s0, 0x4f000000, v33
	v_cvt_i32_f32_e32 v33, v48
	v_cvt_i32_f32_e32 v35, v52
	v_cmp_nle_f32_e64 s6, 0x4f000000, v40
	v_cmp_nle_f32_e64 s7, 0x4f000000, v36
	v_cndmask_b32_e64 v36, 0x7fffffff, v55, s8
	v_cvt_i32_f32_e32 v40, v54
	v_cmp_nle_f32_e64 s8, 0x4f000000, v41
	v_cmp_nle_f32_e64 s9, 0x4f000000, v37
	v_cndmask_b32_e64 v29, 0x7fffffff, v29, s11
	v_cndmask_b32_e64 v37, 0x7fffffff, v57, s10
	v_cvt_i32_f32_e32 v41, v56
	v_cmp_nle_f32_e64 s10, 0x4f000000, v42
	v_cmp_nle_f32_e64 s11, 0x4f000000, v38
	v_cndmask_b32_e64 v38, 0x7fffffff, v59, s12
	v_cvt_i32_f32_e32 v42, v58
	v_cmp_nle_f32_e64 s12, 0x4f000000, v43
	v_cmp_nle_f32_e64 s14, 0x4f000000, v1
	v_add_nc_u32_e32 v1, s29, v19
	v_cndmask_b32_e64 v43, 0x7fffffff, v46, s0
	v_cndmask_b32_e64 v33, 0x7fffffff, v33, s2
	;; [unrolled: 1-line block ×4, first 2 shown]
	v_cndmask_b32_e32 v32, 0x7fffffff, v45, vcc_lo
	v_cndmask_b32_e64 v35, 0x7fffffff, v35, s6
	v_cndmask_b32_e64 v40, 0x7fffffff, v40, s8
	v_cndmask_b32_e64 v41, 0x7fffffff, v41, s10
	v_cndmask_b32_e64 v42, 0x7fffffff, v42, s12
	v_cvt_i32_f32_e32 v16, v16
	v_cvt_i32_f32_e32 v17, v17
	;; [unrolled: 1-line block ×4, first 2 shown]
	v_cmp_nle_f32_e64 s13, 0x4f000000, v39
	v_add_nc_u32_e32 v39, s29, v44
	v_add_nc_u32_e32 v22, s29, v22
	;; [unrolled: 1-line block ×16, first 2 shown]
	v_cndmask_b32_e64 v16, 0x7fffffff, v16, s1
	v_cndmask_b32_e64 v17, 0x7fffffff, v17, s3
	;; [unrolled: 1-line block ×4, first 2 shown]
	v_med3_i32 v1, v1, s34, 0x7f
	v_add_nc_u32_e32 v19, s30, v19
	v_med3_i32 v39, v39, s34, 0x7f
	v_med3_i32 v21, v21, s34, 0x7f
	;; [unrolled: 1-line block ×16, first 2 shown]
	v_cvt_i32_f32_e32 v24, v24
	v_add_nc_u32_e32 v20, s30, v20
	v_med3_i32 v15, v15, s34, 0x7f
	v_cvt_i32_f32_e32 v25, v25
	v_add_nc_u32_e32 v16, s30, v16
	v_add_nc_u32_e32 v12, s30, v12
	v_cvt_i32_f32_e32 v26, v26
	v_add_nc_u32_e32 v13, s30, v13
	v_add_nc_u32_e32 v17, s30, v17
	;; [unrolled: 1-line block ×4, first 2 shown]
	v_and_b32_e32 v1, 0xff, v1
	v_med3_i32 v19, v19, s34, 0x7f
	v_and_b32_e32 v39, 0xff, v39
	v_and_b32_e32 v21, 0xff, v21
	;; [unrolled: 1-line block ×7, first 2 shown]
	s_clause 0x1
	global_store_b8 v[5:6], v27, off offset:8
	global_store_b8 v[5:6], v15, off
	v_lshlrev_b16 v15, 8, v32
	v_lshlrev_b16 v27, 8, v43
	;; [unrolled: 1-line block ×8, first 2 shown]
	v_cndmask_b32_e64 v24, 0x7fffffff, v24, s9
	v_med3_i32 v20, v20, s34, 0x7f
	v_cndmask_b32_e64 v25, 0x7fffffff, v25, s11
	v_med3_i32 v16, v16, s34, 0x7f
	v_med3_i32 v12, v12, s34, 0x7f
	v_cndmask_b32_e64 v26, 0x7fffffff, v26, s13
	v_med3_i32 v13, v13, s34, 0x7f
	v_med3_i32 v17, v17, s34, 0x7f
	;; [unrolled: 1-line block ×5, first 2 shown]
	s_clause 0x8
	global_store_b8 v[5:6], v19, off offset:1
	global_store_b8 v[5:6], v20, off offset:2
	global_store_b8 v[5:6], v16, off offset:3
	global_store_b8 v[5:6], v12, off offset:4
	global_store_b8 v[5:6], v17, off offset:5
	global_store_b8 v[5:6], v13, off offset:6
	global_store_b8 v[5:6], v18, off offset:7
	global_store_b8 v[5:6], v23, off offset:9
	global_store_b8 v[5:6], v28, off offset:10
	v_or_b32_e32 v1, v1, v15
	v_or_b32_e32 v12, v39, v27
	;; [unrolled: 1-line block ×8, first 2 shown]
	v_add_nc_u32_e32 v29, s30, v29
	v_add_nc_u32_e32 v24, s30, v24
	;; [unrolled: 1-line block ×4, first 2 shown]
	v_and_b32_e32 v15, 0xffff, v15
	v_lshlrev_b32_e32 v16, 16, v16
	v_and_b32_e32 v17, 0xffff, v17
	v_lshlrev_b32_e32 v20, 16, v18
	;; [unrolled: 2-line block ×4, first 2 shown]
	v_med3_i32 v29, v29, s34, 0x7f
	v_med3_i32 v24, v24, s34, 0x7f
	;; [unrolled: 1-line block ×5, first 2 shown]
	v_or_b32_e32 v18, v15, v16
	v_or_b32_e32 v17, v17, v20
	;; [unrolled: 1-line block ×4, first 2 shown]
	s_clause 0x5
	global_store_b8 v[5:6], v24, off offset:11
	global_store_b8 v[5:6], v29, off offset:12
	global_store_b8 v[5:6], v25, off offset:13
	global_store_b8 v[5:6], v30, off offset:14
	global_store_b8 v[5:6], v26, off offset:15
	global_store_b128 v[7:8], v[15:18], off
	s_and_not1_b32 exec_lo, exec_lo, s28
	s_cbranch_execnz .LBB3_102
; %bb.103:
	s_or_b32 exec_lo, exec_lo, s28
	v_cmp_ne_u32_e32 vcc_lo, v9, v10
	v_add_nc_u32_e32 v0, v0, v10
	s_or_not1_b32 s0, vcc_lo, exec_lo
.LBB3_104:
	s_or_b32 exec_lo, exec_lo, s27
	s_delay_alu instid0(SALU_CYCLE_1)
	s_and_b32 exec_lo, exec_lo, s0
	s_cbranch_execz .LBB3_171
; %bb.105:
	v_mov_b32_e32 v1, 0
	s_add_u32 s0, s18, s24
	s_addc_u32 s2, s19, s25
	s_lshl_b32 s1, s15, 4
	s_add_u32 s3, s16, s20
	v_lshlrev_b64 v[2:3], 4, v[0:1]
	v_lshlrev_b64 v[4:5], 5, v[0:1]
	s_addc_u32 s4, s17, s21
	s_delay_alu instid0(VALU_DEP_2) | instskip(NEXT) | instid1(VALU_DEP_3)
	v_add_co_u32 v9, vcc_lo, s0, v2
	v_add_co_ci_u32_e32 v10, vcc_lo, s2, v3, vcc_lo
	s_delay_alu instid0(VALU_DEP_3) | instskip(NEXT) | instid1(VALU_DEP_4)
	v_add_co_u32 v11, vcc_lo, s3, v4
	v_add_co_ci_u32_e32 v12, vcc_lo, s4, v5, vcc_lo
	s_mov_b32 s2, 0
	s_lshl_b32 s3, s15, 5
	s_movk_i32 s4, 0xff80
	s_branch .LBB3_108
.LBB3_106:                              ;   in Loop: Header=BB3_108 Depth=1
	s_or_b32 exec_lo, exec_lo, s5
.LBB3_107:                              ;   in Loop: Header=BB3_108 Depth=1
	s_delay_alu instid0(SALU_CYCLE_1)
	s_or_b32 exec_lo, exec_lo, s0
	v_add_nc_u32_e32 v4, s30, v22
	v_add_nc_u32_e32 v19, s30, v19
	;; [unrolled: 1-line block ×5, first 2 shown]
	v_med3_i32 v4, v4, s4, 0x7f
	v_med3_i32 v19, v19, s4, 0x7f
	;; [unrolled: 1-line block ×4, first 2 shown]
	v_add_nc_u32_e32 v2, s30, v2
	v_add_nc_u32_e32 v20, s30, v20
	;; [unrolled: 1-line block ×9, first 2 shown]
	v_lshlrev_b16 v3, 8, v3
	v_and_b32_e32 v4, 0xff, v4
	v_lshlrev_b16 v19, 8, v19
	v_and_b32_e32 v8, 0xff, v8
	v_add_nc_u32_e32 v13, s30, v13
	v_add_nc_u32_e32 v15, s30, v15
	v_med3_i32 v21, v21, s4, 0x7f
	v_med3_i32 v2, v2, s4, 0x7f
	;; [unrolled: 1-line block ×10, first 2 shown]
	v_or_b32_e32 v3, v4, v3
	v_or_b32_e32 v4, v8, v19
	v_med3_i32 v8, v13, s4, 0x7f
	v_med3_i32 v13, v15, s4, 0x7f
	v_lshlrev_b16 v21, 8, v21
	v_and_b32_e32 v2, 0xff, v2
	v_and_b32_e32 v15, 0xffff, v4
	v_lshlrev_b16 v4, 8, v20
	v_and_b32_e32 v1, 0xff, v1
	v_lshlrev_b16 v17, 8, v17
	;; [unrolled: 2-line block ×5, first 2 shown]
	v_and_b32_e32 v16, 0xff, v16
	v_or_b32_e32 v2, v2, v21
	v_or_b32_e32 v1, v1, v4
	;; [unrolled: 1-line block ×6, first 2 shown]
	v_and_b32_e32 v2, 0xffff, v2
	v_lshlrev_b32_e32 v3, 16, v3
	v_lshlrev_b32_e32 v1, 16, v1
	v_and_b32_e32 v8, 0xffff, v4
	v_lshlrev_b32_e32 v6, 16, v6
	v_and_b32_e32 v7, 0xffff, v7
	v_lshlrev_b32_e32 v5, 16, v5
	v_or_b32_e32 v4, v2, v3
	v_or_b32_e32 v3, v15, v1
	v_or_b32_e32 v2, v8, v6
	v_add_nc_u32_e32 v0, s15, v0
	v_or_b32_e32 v1, v7, v5
	v_add_co_u32 v11, s0, v11, s3
	s_delay_alu instid0(VALU_DEP_1)
	v_add_co_ci_u32_e64 v12, s0, 0, v12, s0
	global_store_b128 v[9:10], v[1:4], off
	v_add_co_u32 v9, vcc_lo, v9, s1
	v_add_co_ci_u32_e32 v10, vcc_lo, 0, v10, vcc_lo
	v_cmp_le_i32_e32 vcc_lo, s26, v0
	s_or_b32 s2, vcc_lo, s2
	s_delay_alu instid0(SALU_CYCLE_1)
	s_and_not1_b32 exec_lo, exec_lo, s2
	s_cbranch_execz .LBB3_171
.LBB3_108:                              ; =>This Inner Loop Header: Depth=1
	s_clause 0x1
	global_load_b128 v[5:8], v[11:12], off
	global_load_b128 v[1:4], v[11:12], off offset:16
	v_bfrev_b32_e32 v15, -2
	s_mov_b32 s0, exec_lo
	s_waitcnt vmcnt(1)
	v_cvt_f32_f16_e32 v13, v5
	s_delay_alu instid0(VALU_DEP_1) | instskip(NEXT) | instid1(VALU_DEP_1)
	v_mul_f32_e32 v13, v14, v13
	v_rndne_f32_e32 v16, v13
	v_bfrev_b32_e32 v13, -2
	s_delay_alu instid0(VALU_DEP_2)
	v_cmpx_nle_f32_e32 0x4f000000, v16
	s_cbranch_execz .LBB3_112
; %bb.109:                              ;   in Loop: Header=BB3_108 Depth=1
	v_bfrev_b32_e32 v15, 1
	s_mov_b32 s5, exec_lo
	v_cmpx_nge_f32_e32 0xcf000000, v16
; %bb.110:                              ;   in Loop: Header=BB3_108 Depth=1
	v_cvt_i32_f32_e32 v15, v16
; %bb.111:                              ;   in Loop: Header=BB3_108 Depth=1
	s_or_b32 exec_lo, exec_lo, s5
.LBB3_112:                              ;   in Loop: Header=BB3_108 Depth=1
	s_delay_alu instid0(SALU_CYCLE_1) | instskip(SKIP_2) | instid1(VALU_DEP_1)
	s_or_b32 exec_lo, exec_lo, s0
	v_lshrrev_b32_e32 v5, 16, v5
	s_mov_b32 s0, exec_lo
	v_cvt_f32_f16_e32 v5, v5
	s_delay_alu instid0(VALU_DEP_1) | instskip(NEXT) | instid1(VALU_DEP_1)
	v_mul_f32_e32 v5, v14, v5
	v_rndne_f32_e32 v5, v5
	s_delay_alu instid0(VALU_DEP_1)
	v_cmpx_nle_f32_e32 0x4f000000, v5
	s_cbranch_execz .LBB3_116
; %bb.113:                              ;   in Loop: Header=BB3_108 Depth=1
	v_bfrev_b32_e32 v13, 1
	s_mov_b32 s5, exec_lo
	v_cmpx_nge_f32_e32 0xcf000000, v5
; %bb.114:                              ;   in Loop: Header=BB3_108 Depth=1
	v_cvt_i32_f32_e32 v13, v5
; %bb.115:                              ;   in Loop: Header=BB3_108 Depth=1
	s_or_b32 exec_lo, exec_lo, s5
.LBB3_116:                              ;   in Loop: Header=BB3_108 Depth=1
	s_delay_alu instid0(SALU_CYCLE_1) | instskip(SKIP_3) | instid1(VALU_DEP_2)
	s_or_b32 exec_lo, exec_lo, s0
	v_cvt_f32_f16_e32 v5, v6
	v_bfrev_b32_e32 v16, -2
	s_mov_b32 s0, exec_lo
	v_mul_f32_e32 v5, v14, v5
	s_delay_alu instid0(VALU_DEP_1) | instskip(SKIP_1) | instid1(VALU_DEP_2)
	v_rndne_f32_e32 v17, v5
	v_bfrev_b32_e32 v5, -2
	v_cmpx_nle_f32_e32 0x4f000000, v17
	s_cbranch_execz .LBB3_120
; %bb.117:                              ;   in Loop: Header=BB3_108 Depth=1
	v_bfrev_b32_e32 v16, 1
	s_mov_b32 s5, exec_lo
	v_cmpx_nge_f32_e32 0xcf000000, v17
; %bb.118:                              ;   in Loop: Header=BB3_108 Depth=1
	v_cvt_i32_f32_e32 v16, v17
; %bb.119:                              ;   in Loop: Header=BB3_108 Depth=1
	s_or_b32 exec_lo, exec_lo, s5
.LBB3_120:                              ;   in Loop: Header=BB3_108 Depth=1
	s_delay_alu instid0(SALU_CYCLE_1) | instskip(SKIP_2) | instid1(VALU_DEP_1)
	s_or_b32 exec_lo, exec_lo, s0
	v_lshrrev_b32_e32 v6, 16, v6
	s_mov_b32 s0, exec_lo
	v_cvt_f32_f16_e32 v6, v6
	s_delay_alu instid0(VALU_DEP_1) | instskip(NEXT) | instid1(VALU_DEP_1)
	v_mul_f32_e32 v6, v14, v6
	v_rndne_f32_e32 v6, v6
	s_delay_alu instid0(VALU_DEP_1)
	v_cmpx_nle_f32_e32 0x4f000000, v6
	s_cbranch_execz .LBB3_124
; %bb.121:                              ;   in Loop: Header=BB3_108 Depth=1
	v_bfrev_b32_e32 v5, 1
	s_mov_b32 s5, exec_lo
	v_cmpx_nge_f32_e32 0xcf000000, v6
; %bb.122:                              ;   in Loop: Header=BB3_108 Depth=1
	v_cvt_i32_f32_e32 v5, v6
; %bb.123:                              ;   in Loop: Header=BB3_108 Depth=1
	s_or_b32 exec_lo, exec_lo, s5
.LBB3_124:                              ;   in Loop: Header=BB3_108 Depth=1
	s_delay_alu instid0(SALU_CYCLE_1) | instskip(SKIP_3) | instid1(VALU_DEP_2)
	s_or_b32 exec_lo, exec_lo, s0
	v_cvt_f32_f16_e32 v6, v7
	v_bfrev_b32_e32 v17, -2
	s_mov_b32 s0, exec_lo
	v_mul_f32_e32 v6, v14, v6
	s_delay_alu instid0(VALU_DEP_1) | instskip(SKIP_1) | instid1(VALU_DEP_2)
	v_rndne_f32_e32 v18, v6
	v_bfrev_b32_e32 v6, -2
	v_cmpx_nle_f32_e32 0x4f000000, v18
	s_cbranch_execz .LBB3_128
; %bb.125:                              ;   in Loop: Header=BB3_108 Depth=1
	v_bfrev_b32_e32 v6, 1
	s_mov_b32 s5, exec_lo
	v_cmpx_nge_f32_e32 0xcf000000, v18
; %bb.126:                              ;   in Loop: Header=BB3_108 Depth=1
	v_cvt_i32_f32_e32 v6, v18
; %bb.127:                              ;   in Loop: Header=BB3_108 Depth=1
	s_or_b32 exec_lo, exec_lo, s5
.LBB3_128:                              ;   in Loop: Header=BB3_108 Depth=1
	s_delay_alu instid0(SALU_CYCLE_1) | instskip(SKIP_2) | instid1(VALU_DEP_1)
	s_or_b32 exec_lo, exec_lo, s0
	v_lshrrev_b32_e32 v7, 16, v7
	s_mov_b32 s0, exec_lo
	v_cvt_f32_f16_e32 v7, v7
	s_delay_alu instid0(VALU_DEP_1) | instskip(NEXT) | instid1(VALU_DEP_1)
	v_mul_f32_e32 v7, v14, v7
	v_rndne_f32_e32 v7, v7
	s_delay_alu instid0(VALU_DEP_1)
	v_cmpx_nle_f32_e32 0x4f000000, v7
	s_cbranch_execz .LBB3_132
; %bb.129:                              ;   in Loop: Header=BB3_108 Depth=1
	v_bfrev_b32_e32 v17, 1
	s_mov_b32 s5, exec_lo
	v_cmpx_nge_f32_e32 0xcf000000, v7
; %bb.130:                              ;   in Loop: Header=BB3_108 Depth=1
	v_cvt_i32_f32_e32 v17, v7
; %bb.131:                              ;   in Loop: Header=BB3_108 Depth=1
	s_or_b32 exec_lo, exec_lo, s5
.LBB3_132:                              ;   in Loop: Header=BB3_108 Depth=1
	s_delay_alu instid0(SALU_CYCLE_1) | instskip(SKIP_3) | instid1(VALU_DEP_2)
	s_or_b32 exec_lo, exec_lo, s0
	v_cvt_f32_f16_e32 v7, v8
	v_bfrev_b32_e32 v18, -2
	s_mov_b32 s0, exec_lo
	v_mul_f32_e32 v7, v14, v7
	s_delay_alu instid0(VALU_DEP_1) | instskip(SKIP_1) | instid1(VALU_DEP_2)
	v_rndne_f32_e32 v19, v7
	v_bfrev_b32_e32 v7, -2
	v_cmpx_nle_f32_e32 0x4f000000, v19
	s_cbranch_execz .LBB3_136
; %bb.133:                              ;   in Loop: Header=BB3_108 Depth=1
	v_bfrev_b32_e32 v7, 1
	s_mov_b32 s5, exec_lo
	v_cmpx_nge_f32_e32 0xcf000000, v19
; %bb.134:                              ;   in Loop: Header=BB3_108 Depth=1
	v_cvt_i32_f32_e32 v7, v19
; %bb.135:                              ;   in Loop: Header=BB3_108 Depth=1
	s_or_b32 exec_lo, exec_lo, s5
.LBB3_136:                              ;   in Loop: Header=BB3_108 Depth=1
	s_delay_alu instid0(SALU_CYCLE_1) | instskip(SKIP_2) | instid1(VALU_DEP_1)
	s_or_b32 exec_lo, exec_lo, s0
	v_lshrrev_b32_e32 v8, 16, v8
	s_mov_b32 s0, exec_lo
	v_cvt_f32_f16_e32 v8, v8
	s_delay_alu instid0(VALU_DEP_1) | instskip(NEXT) | instid1(VALU_DEP_1)
	v_mul_f32_e32 v8, v14, v8
	v_rndne_f32_e32 v8, v8
	s_delay_alu instid0(VALU_DEP_1)
	v_cmpx_nle_f32_e32 0x4f000000, v8
	s_cbranch_execz .LBB3_140
; %bb.137:                              ;   in Loop: Header=BB3_108 Depth=1
	v_bfrev_b32_e32 v18, 1
	s_mov_b32 s5, exec_lo
	v_cmpx_nge_f32_e32 0xcf000000, v8
; %bb.138:                              ;   in Loop: Header=BB3_108 Depth=1
	v_cvt_i32_f32_e32 v18, v8
; %bb.139:                              ;   in Loop: Header=BB3_108 Depth=1
	s_or_b32 exec_lo, exec_lo, s5
.LBB3_140:                              ;   in Loop: Header=BB3_108 Depth=1
	s_delay_alu instid0(SALU_CYCLE_1) | instskip(SKIP_4) | instid1(VALU_DEP_2)
	s_or_b32 exec_lo, exec_lo, s0
	s_waitcnt vmcnt(0)
	v_cvt_f32_f16_e32 v8, v1
	v_bfrev_b32_e32 v19, -2
	s_mov_b32 s0, exec_lo
	v_mul_f32_e32 v8, v14, v8
	s_delay_alu instid0(VALU_DEP_1) | instskip(SKIP_1) | instid1(VALU_DEP_2)
	v_rndne_f32_e32 v20, v8
	v_bfrev_b32_e32 v8, -2
	v_cmpx_nle_f32_e32 0x4f000000, v20
	s_cbranch_execz .LBB3_144
; %bb.141:                              ;   in Loop: Header=BB3_108 Depth=1
	v_bfrev_b32_e32 v8, 1
	s_mov_b32 s5, exec_lo
	v_cmpx_nge_f32_e32 0xcf000000, v20
; %bb.142:                              ;   in Loop: Header=BB3_108 Depth=1
	v_cvt_i32_f32_e32 v8, v20
; %bb.143:                              ;   in Loop: Header=BB3_108 Depth=1
	s_or_b32 exec_lo, exec_lo, s5
.LBB3_144:                              ;   in Loop: Header=BB3_108 Depth=1
	s_delay_alu instid0(SALU_CYCLE_1) | instskip(SKIP_2) | instid1(VALU_DEP_1)
	s_or_b32 exec_lo, exec_lo, s0
	v_lshrrev_b32_e32 v1, 16, v1
	s_mov_b32 s0, exec_lo
	v_cvt_f32_f16_e32 v1, v1
	s_delay_alu instid0(VALU_DEP_1) | instskip(NEXT) | instid1(VALU_DEP_1)
	v_mul_f32_e32 v1, v14, v1
	v_rndne_f32_e32 v1, v1
	s_delay_alu instid0(VALU_DEP_1)
	v_cmpx_nle_f32_e32 0x4f000000, v1
	s_cbranch_execz .LBB3_148
; %bb.145:                              ;   in Loop: Header=BB3_108 Depth=1
	v_bfrev_b32_e32 v19, 1
	s_mov_b32 s5, exec_lo
	v_cmpx_nge_f32_e32 0xcf000000, v1
; %bb.146:                              ;   in Loop: Header=BB3_108 Depth=1
	v_cvt_i32_f32_e32 v19, v1
; %bb.147:                              ;   in Loop: Header=BB3_108 Depth=1
	s_or_b32 exec_lo, exec_lo, s5
.LBB3_148:                              ;   in Loop: Header=BB3_108 Depth=1
	s_delay_alu instid0(SALU_CYCLE_1) | instskip(SKIP_3) | instid1(VALU_DEP_2)
	s_or_b32 exec_lo, exec_lo, s0
	v_cvt_f32_f16_e32 v1, v2
	v_bfrev_b32_e32 v20, -2
	s_mov_b32 s0, exec_lo
	v_mul_f32_e32 v1, v14, v1
	s_delay_alu instid0(VALU_DEP_1) | instskip(SKIP_1) | instid1(VALU_DEP_2)
	v_rndne_f32_e32 v21, v1
	v_bfrev_b32_e32 v1, -2
	v_cmpx_nle_f32_e32 0x4f000000, v21
	s_cbranch_execz .LBB3_152
; %bb.149:                              ;   in Loop: Header=BB3_108 Depth=1
	v_bfrev_b32_e32 v1, 1
	s_mov_b32 s5, exec_lo
	v_cmpx_nge_f32_e32 0xcf000000, v21
; %bb.150:                              ;   in Loop: Header=BB3_108 Depth=1
	v_cvt_i32_f32_e32 v1, v21
; %bb.151:                              ;   in Loop: Header=BB3_108 Depth=1
	s_or_b32 exec_lo, exec_lo, s5
.LBB3_152:                              ;   in Loop: Header=BB3_108 Depth=1
	s_delay_alu instid0(SALU_CYCLE_1) | instskip(SKIP_2) | instid1(VALU_DEP_1)
	s_or_b32 exec_lo, exec_lo, s0
	v_lshrrev_b32_e32 v2, 16, v2
	s_mov_b32 s0, exec_lo
	v_cvt_f32_f16_e32 v2, v2
	s_delay_alu instid0(VALU_DEP_1) | instskip(NEXT) | instid1(VALU_DEP_1)
	v_mul_f32_e32 v2, v14, v2
	v_rndne_f32_e32 v2, v2
	s_delay_alu instid0(VALU_DEP_1)
	v_cmpx_nle_f32_e32 0x4f000000, v2
	s_cbranch_execz .LBB3_156
; %bb.153:                              ;   in Loop: Header=BB3_108 Depth=1
	v_bfrev_b32_e32 v20, 1
	s_mov_b32 s5, exec_lo
	v_cmpx_nge_f32_e32 0xcf000000, v2
; %bb.154:                              ;   in Loop: Header=BB3_108 Depth=1
	v_cvt_i32_f32_e32 v20, v2
; %bb.155:                              ;   in Loop: Header=BB3_108 Depth=1
	s_or_b32 exec_lo, exec_lo, s5
.LBB3_156:                              ;   in Loop: Header=BB3_108 Depth=1
	s_delay_alu instid0(SALU_CYCLE_1) | instskip(SKIP_3) | instid1(VALU_DEP_2)
	s_or_b32 exec_lo, exec_lo, s0
	;; [unrolled: 40-line block ×3, first 2 shown]
	v_cvt_f32_f16_e32 v3, v4
	v_bfrev_b32_e32 v22, -2
	s_mov_b32 s0, exec_lo
	v_mul_f32_e32 v3, v14, v3
	s_delay_alu instid0(VALU_DEP_1) | instskip(SKIP_1) | instid1(VALU_DEP_2)
	v_rndne_f32_e32 v23, v3
	v_bfrev_b32_e32 v3, -2
	v_cmpx_nle_f32_e32 0x4f000000, v23
	s_cbranch_execz .LBB3_168
; %bb.165:                              ;   in Loop: Header=BB3_108 Depth=1
	v_bfrev_b32_e32 v22, 1
	s_mov_b32 s5, exec_lo
	v_cmpx_nge_f32_e32 0xcf000000, v23
; %bb.166:                              ;   in Loop: Header=BB3_108 Depth=1
	v_cvt_i32_f32_e32 v22, v23
; %bb.167:                              ;   in Loop: Header=BB3_108 Depth=1
	s_or_b32 exec_lo, exec_lo, s5
.LBB3_168:                              ;   in Loop: Header=BB3_108 Depth=1
	s_delay_alu instid0(SALU_CYCLE_1) | instskip(SKIP_2) | instid1(VALU_DEP_1)
	s_or_b32 exec_lo, exec_lo, s0
	v_lshrrev_b32_e32 v4, 16, v4
	s_mov_b32 s0, exec_lo
	v_cvt_f32_f16_e32 v4, v4
	s_delay_alu instid0(VALU_DEP_1) | instskip(NEXT) | instid1(VALU_DEP_1)
	v_mul_f32_e32 v4, v14, v4
	v_rndne_f32_e32 v4, v4
	s_delay_alu instid0(VALU_DEP_1)
	v_cmpx_nle_f32_e32 0x4f000000, v4
	s_cbranch_execz .LBB3_107
; %bb.169:                              ;   in Loop: Header=BB3_108 Depth=1
	v_bfrev_b32_e32 v3, 1
	s_mov_b32 s5, exec_lo
	v_cmpx_nge_f32_e32 0xcf000000, v4
	s_cbranch_execz .LBB3_106
; %bb.170:                              ;   in Loop: Header=BB3_108 Depth=1
	v_cvt_i32_f32_e32 v3, v4
	s_branch .LBB3_106
.LBB3_171:
	s_nop 0
	s_sendmsg sendmsg(MSG_DEALLOC_VGPRS)
	s_endpgm
	.section	.rodata,"a",@progbits
	.p2align	6, 0x0
	.amdhsa_kernel _ZN4vllm35static_scaled_int8_azp_quant_kernelIN3c104HalfEfiEEvPKT_PaPKT0_PKT1_i
		.amdhsa_group_segment_fixed_size 0
		.amdhsa_private_segment_fixed_size 0
		.amdhsa_kernarg_size 296
		.amdhsa_user_sgpr_count 15
		.amdhsa_user_sgpr_dispatch_ptr 0
		.amdhsa_user_sgpr_queue_ptr 0
		.amdhsa_user_sgpr_kernarg_segment_ptr 1
		.amdhsa_user_sgpr_dispatch_id 0
		.amdhsa_user_sgpr_private_segment_size 0
		.amdhsa_wavefront_size32 1
		.amdhsa_uses_dynamic_stack 0
		.amdhsa_enable_private_segment 0
		.amdhsa_system_sgpr_workgroup_id_x 1
		.amdhsa_system_sgpr_workgroup_id_y 0
		.amdhsa_system_sgpr_workgroup_id_z 0
		.amdhsa_system_sgpr_workgroup_info 0
		.amdhsa_system_vgpr_workitem_id 0
		.amdhsa_next_free_vgpr 61
		.amdhsa_next_free_sgpr 46
		.amdhsa_reserve_vcc 1
		.amdhsa_float_round_mode_32 0
		.amdhsa_float_round_mode_16_64 0
		.amdhsa_float_denorm_mode_32 3
		.amdhsa_float_denorm_mode_16_64 3
		.amdhsa_dx10_clamp 1
		.amdhsa_ieee_mode 1
		.amdhsa_fp16_overflow 0
		.amdhsa_workgroup_processor_mode 1
		.amdhsa_memory_ordered 1
		.amdhsa_forward_progress 0
		.amdhsa_shared_vgpr_count 0
		.amdhsa_exception_fp_ieee_invalid_op 0
		.amdhsa_exception_fp_denorm_src 0
		.amdhsa_exception_fp_ieee_div_zero 0
		.amdhsa_exception_fp_ieee_overflow 0
		.amdhsa_exception_fp_ieee_underflow 0
		.amdhsa_exception_fp_ieee_inexact 0
		.amdhsa_exception_int_div_zero 0
	.end_amdhsa_kernel
	.section	.text._ZN4vllm35static_scaled_int8_azp_quant_kernelIN3c104HalfEfiEEvPKT_PaPKT0_PKT1_i,"axG",@progbits,_ZN4vllm35static_scaled_int8_azp_quant_kernelIN3c104HalfEfiEEvPKT_PaPKT0_PKT1_i,comdat
.Lfunc_end3:
	.size	_ZN4vllm35static_scaled_int8_azp_quant_kernelIN3c104HalfEfiEEvPKT_PaPKT0_PKT1_i, .Lfunc_end3-_ZN4vllm35static_scaled_int8_azp_quant_kernelIN3c104HalfEfiEEvPKT_PaPKT0_PKT1_i
                                        ; -- End function
	.section	.AMDGPU.csdata,"",@progbits
; Kernel info:
; codeLenInByte = 12384
; NumSgprs: 48
; NumVgprs: 61
; ScratchSize: 0
; MemoryBound: 0
; FloatMode: 240
; IeeeMode: 1
; LDSByteSize: 0 bytes/workgroup (compile time only)
; SGPRBlocks: 5
; VGPRBlocks: 7
; NumSGPRsForWavesPerEU: 48
; NumVGPRsForWavesPerEU: 61
; Occupancy: 16
; WaveLimiterHint : 0
; COMPUTE_PGM_RSRC2:SCRATCH_EN: 0
; COMPUTE_PGM_RSRC2:USER_SGPR: 15
; COMPUTE_PGM_RSRC2:TRAP_HANDLER: 0
; COMPUTE_PGM_RSRC2:TGID_X_EN: 1
; COMPUTE_PGM_RSRC2:TGID_Y_EN: 0
; COMPUTE_PGM_RSRC2:TGID_Z_EN: 0
; COMPUTE_PGM_RSRC2:TIDIG_COMP_CNT: 0
	.section	.text._ZN4vllm31static_scaled_int8_quant_kernelIN3c108BFloat16EfEEvPKT_PaPKT0_i,"axG",@progbits,_ZN4vllm31static_scaled_int8_quant_kernelIN3c108BFloat16EfEEvPKT_PaPKT0_i,comdat
	.protected	_ZN4vllm31static_scaled_int8_quant_kernelIN3c108BFloat16EfEEvPKT_PaPKT0_i ; -- Begin function _ZN4vllm31static_scaled_int8_quant_kernelIN3c108BFloat16EfEEvPKT_PaPKT0_i
	.globl	_ZN4vllm31static_scaled_int8_quant_kernelIN3c108BFloat16EfEEvPKT_PaPKT0_i
	.p2align	8
	.type	_ZN4vllm31static_scaled_int8_quant_kernelIN3c108BFloat16EfEEvPKT_PaPKT0_i,@function
_ZN4vllm31static_scaled_int8_quant_kernelIN3c108BFloat16EfEEvPKT_PaPKT0_i: ; @_ZN4vllm31static_scaled_int8_quant_kernelIN3c108BFloat16EfEEvPKT_PaPKT0_i
; %bb.0:
	s_clause 0x3
	s_load_b32 s30, s[0:1], 0x18
	s_load_b32 s4, s[0:1], 0x2c
	s_load_b64 s[2:3], s[0:1], 0x10
	s_load_b128 s[16:19], s[0:1], 0x0
	s_mov_b32 s1, 0
	s_waitcnt lgkmcnt(0)
	s_ashr_i32 s0, s30, 31
	s_mul_hi_u32 s5, s30, s15
	s_mul_i32 s0, s0, s15
	s_mul_i32 s22, s30, s15
	s_add_i32 s23, s5, s0
	s_load_b32 s29, s[2:3], 0x0
	s_lshl_b64 s[20:21], s[22:23], 1
	s_and_b32 s28, s4, 0xffff
	s_add_u32 s31, s16, s20
	s_addc_u32 s33, s17, s21
	s_and_b32 s0, s31, 31
	s_delay_alu instid0(SALU_CYCLE_1) | instskip(SKIP_2) | instid1(SALU_CYCLE_1)
	s_cmp_lg_u64 s[0:1], 0
	s_cselect_b32 s0, -1, 0
	s_and_b32 s1, s30, 15
	s_cmp_lg_u32 s1, 0
	s_cselect_b32 s1, -1, 0
	s_delay_alu instid0(SALU_CYCLE_1) | instskip(NEXT) | instid1(SALU_CYCLE_1)
	s_or_b32 s0, s1, s0
	s_and_b32 vcc_lo, exec_lo, s0
	s_mov_b32 s0, -1
	s_cbranch_vccz .LBB4_21
; %bb.1:
	s_add_u32 s26, s18, s22
	s_addc_u32 s27, s19, s23
	s_sub_i32 s0, 0, s31
	v_cvt_f32_u32_e32 v13, s28
	s_bfe_u32 s0, s0, 0x40001
	s_mov_b32 s1, exec_lo
	s_min_i32 s24, s0, s30
	s_delay_alu instid0(SALU_CYCLE_1)
	v_cmpx_gt_i32_e64 s24, v0
	s_cbranch_execz .LBB4_9
; %bb.2:
	v_rcp_iflag_f32_e32 v1, v13
	s_sub_i32 s0, 0, s28
	v_add_nc_u32_e32 v3, s28, v0
	s_cmp_eq_u32 s28, 1
	s_mov_b32 s3, 0
	s_delay_alu instid0(VALU_DEP_1) | instskip(SKIP_3) | instid1(VALU_DEP_1)
	v_cmp_gt_i32_e32 vcc_lo, s24, v3
	v_max_i32_e32 v4, s24, v3
	s_waitcnt_depctr 0xfff
	v_mul_f32_e32 v1, 0x4f7ffffe, v1
	v_cvt_u32_f32_e32 v1, v1
	s_delay_alu instid0(VALU_DEP_1) | instskip(SKIP_1) | instid1(VALU_DEP_1)
	v_mul_lo_u32 v2, s0, v1
	v_add_co_ci_u32_e64 v3, s0, s28, v0, vcc_lo
	v_sub_nc_u32_e32 v3, v4, v3
	s_delay_alu instid0(VALU_DEP_3) | instskip(NEXT) | instid1(VALU_DEP_1)
	v_mul_hi_u32 v2, v1, v2
	v_add_nc_u32_e32 v1, v1, v2
	s_delay_alu instid0(VALU_DEP_1) | instskip(NEXT) | instid1(VALU_DEP_1)
	v_mul_hi_u32 v1, v3, v1
	v_mul_lo_u32 v2, v1, s28
	s_delay_alu instid0(VALU_DEP_1) | instskip(SKIP_1) | instid1(VALU_DEP_2)
	v_sub_nc_u32_e32 v2, v3, v2
	v_add_nc_u32_e32 v3, 1, v1
	v_subrev_nc_u32_e32 v4, s28, v2
	v_cmp_le_u32_e64 s0, s28, v2
	s_delay_alu instid0(VALU_DEP_1) | instskip(NEXT) | instid1(VALU_DEP_3)
	v_cndmask_b32_e64 v1, v1, v3, s0
	v_cndmask_b32_e64 v2, v2, v4, s0
	s_delay_alu instid0(VALU_DEP_2) | instskip(NEXT) | instid1(VALU_DEP_2)
	v_add_nc_u32_e32 v3, 1, v1
	v_cmp_le_u32_e64 s0, s28, v2
	s_delay_alu instid0(VALU_DEP_1) | instskip(SKIP_1) | instid1(VALU_DEP_1)
	v_cndmask_b32_e64 v1, v1, v3, s0
	s_cselect_b32 s0, -1, 0
	v_add_co_ci_u32_e32 v3, vcc_lo, 1, v1, vcc_lo
	v_mov_b32_e32 v1, v0
	s_delay_alu instid0(VALU_DEP_2)
	v_cmp_lt_u32_e32 vcc_lo, 1, v3
	s_and_b32 s4, vcc_lo, s0
	s_mov_b32 s0, -1
	s_and_saveexec_b32 s2, s4
	s_cbranch_execz .LBB4_6
; %bb.3:
	v_dual_mov_b32 v1, v0 :: v_dual_and_b32 v4, -2, v3
	v_mov_b32_e32 v2, 0
	s_waitcnt lgkmcnt(0)
	s_mov_b32 s4, s29
	s_delay_alu instid0(VALU_DEP_2)
	v_mov_b32_e32 v5, v4
.LBB4_4:                                ; =>This Inner Loop Header: Depth=1
	s_delay_alu instid0(VALU_DEP_1) | instskip(NEXT) | instid1(VALU_DEP_2)
	v_lshlrev_b64 v[6:7], 1, v[1:2]
	v_add_nc_u32_e32 v5, -2, v5
	s_delay_alu instid0(VALU_DEP_2) | instskip(NEXT) | instid1(VALU_DEP_3)
	v_add_co_u32 v6, vcc_lo, s31, v6
	v_add_co_ci_u32_e32 v7, vcc_lo, s33, v7, vcc_lo
	global_load_b32 v6, v[6:7], off
	s_waitcnt vmcnt(0)
	v_and_b32_e32 v7, 0xffff0000, v6
	v_lshlrev_b32_e32 v6, 16, v6
	s_delay_alu instid0(VALU_DEP_2) | instskip(NEXT) | instid1(VALU_DEP_2)
	v_div_scale_f32 v8, null, s4, s4, v7
	v_div_scale_f32 v9, null, s29, s29, v6
	s_delay_alu instid0(VALU_DEP_2) | instskip(NEXT) | instid1(VALU_DEP_1)
	v_rcp_f32_e32 v10, v8
	v_rcp_f32_e32 v11, v9
	s_waitcnt_depctr 0xfff
	v_fma_f32 v12, -v8, v10, 1.0
	v_fma_f32 v14, -v9, v11, 1.0
	s_delay_alu instid0(VALU_DEP_1) | instskip(SKIP_1) | instid1(VALU_DEP_1)
	v_dual_fmac_f32 v10, v12, v10 :: v_dual_fmac_f32 v11, v14, v11
	v_div_scale_f32 v12, s0, v6, s29, v6
	v_mul_f32_e32 v16, v12, v11
	v_div_scale_f32 v15, vcc_lo, v7, s4, v7
	s_delay_alu instid0(VALU_DEP_2) | instskip(NEXT) | instid1(VALU_DEP_2)
	v_fma_f32 v18, -v9, v16, v12
	v_mul_f32_e32 v14, v15, v10
	s_delay_alu instid0(VALU_DEP_2) | instskip(NEXT) | instid1(VALU_DEP_2)
	v_fmac_f32_e32 v16, v18, v11
	v_fma_f32 v17, -v8, v14, v15
	s_delay_alu instid0(VALU_DEP_2) | instskip(NEXT) | instid1(VALU_DEP_2)
	v_fma_f32 v9, -v9, v16, v12
	v_fmac_f32_e32 v14, v17, v10
	s_delay_alu instid0(VALU_DEP_1) | instskip(NEXT) | instid1(VALU_DEP_1)
	v_fma_f32 v8, -v8, v14, v15
	v_div_fmas_f32 v8, v8, v10, v14
	s_mov_b32 vcc_lo, s0
	v_div_fmas_f32 v9, v9, v11, v16
	s_delay_alu instid0(VALU_DEP_2) | instskip(NEXT) | instid1(VALU_DEP_2)
	v_div_fixup_f32 v7, v8, s4, v7
	v_div_fixup_f32 v6, v9, s29, v6
	s_delay_alu instid0(VALU_DEP_2) | instskip(NEXT) | instid1(VALU_DEP_2)
	v_rndne_f32_e32 v7, v7
	v_rndne_f32_e32 v6, v6
	s_delay_alu instid0(VALU_DEP_2) | instskip(SKIP_1) | instid1(VALU_DEP_3)
	v_cmp_nlt_f32_e32 vcc_lo, 0x42fe0000, v7
	v_cndmask_b32_e32 v8, 0x42fe0000, v7, vcc_lo
	v_cmp_nlt_f32_e32 vcc_lo, 0x42fe0000, v6
	v_cndmask_b32_e32 v9, 0x42fe0000, v6, vcc_lo
	v_cmp_ngt_f32_e32 vcc_lo, 0xc3000000, v7
	s_delay_alu instid0(VALU_DEP_4) | instskip(SKIP_1) | instid1(VALU_DEP_2)
	v_cndmask_b32_e32 v7, 0xc3000000, v8, vcc_lo
	v_cmp_ngt_f32_e32 vcc_lo, 0xc3000000, v6
	v_cvt_i32_f32_e32 v7, v7
	v_cndmask_b32_e32 v6, 0xc3000000, v9, vcc_lo
	v_cmp_eq_u32_e32 vcc_lo, 0, v5
	s_delay_alu instid0(VALU_DEP_3) | instskip(NEXT) | instid1(VALU_DEP_3)
	v_lshlrev_b16 v7, 8, v7
	v_cvt_i32_f32_e32 v6, v6
	s_or_b32 s3, vcc_lo, s3
	s_delay_alu instid0(VALU_DEP_1) | instskip(NEXT) | instid1(VALU_DEP_1)
	v_and_b32_e32 v6, 0xff, v6
	v_or_b32_e32 v6, v6, v7
	global_store_b16 v1, v6, s[26:27]
	v_add_nc_u32_e32 v1, 2, v1
	s_and_not1_b32 exec_lo, exec_lo, s3
	s_cbranch_execnz .LBB4_4
; %bb.5:
	s_or_b32 exec_lo, exec_lo, s3
	v_cmp_ne_u32_e32 vcc_lo, v3, v4
	v_add_nc_u32_e32 v1, v0, v4
	s_or_not1_b32 s0, vcc_lo, exec_lo
.LBB4_6:
	s_or_b32 exec_lo, exec_lo, s2
	s_delay_alu instid0(SALU_CYCLE_1)
	s_and_b32 exec_lo, exec_lo, s0
	s_cbranch_execz .LBB4_9
; %bb.7:
	v_mov_b32_e32 v2, 0
	s_add_u32 s0, s16, s20
	s_addc_u32 s2, s17, s21
	s_lshl_b32 s3, s28, 1
	s_delay_alu instid0(VALU_DEP_1) | instskip(NEXT) | instid1(VALU_DEP_1)
	v_lshlrev_b64 v[3:4], 1, v[1:2]
	v_add_co_u32 v3, vcc_lo, s0, v3
	s_delay_alu instid0(VALU_DEP_2)
	v_add_co_ci_u32_e32 v4, vcc_lo, s2, v4, vcc_lo
	s_mov_b32 s2, 0
.LBB4_8:                                ; =>This Inner Loop Header: Depth=1
	global_load_u16 v5, v[3:4], off
	s_waitcnt vmcnt(0)
	v_lshlrev_b32_e32 v6, 16, v5
	s_waitcnt lgkmcnt(0)
	s_delay_alu instid0(VALU_DEP_1) | instskip(NEXT) | instid1(VALU_DEP_1)
	v_div_scale_f32 v5, null, s29, s29, v6
	v_rcp_f32_e32 v7, v5
	s_waitcnt_depctr 0xfff
	v_fma_f32 v8, -v5, v7, 1.0
	s_delay_alu instid0(VALU_DEP_1) | instskip(SKIP_1) | instid1(VALU_DEP_1)
	v_fmac_f32_e32 v7, v8, v7
	v_div_scale_f32 v9, vcc_lo, v6, s29, v6
	v_mul_f32_e32 v8, v9, v7
	s_delay_alu instid0(VALU_DEP_1) | instskip(NEXT) | instid1(VALU_DEP_1)
	v_fma_f32 v10, -v5, v8, v9
	v_fmac_f32_e32 v8, v10, v7
	s_delay_alu instid0(VALU_DEP_1) | instskip(NEXT) | instid1(VALU_DEP_1)
	v_fma_f32 v5, -v5, v8, v9
	v_div_fmas_f32 v7, v5, v7, v8
	v_add_co_u32 v5, vcc_lo, s26, v1
	s_delay_alu instid0(VALU_DEP_2) | instskip(SKIP_2) | instid1(VALU_DEP_3)
	v_div_fixup_f32 v7, v7, s29, v6
	v_add_co_ci_u32_e32 v6, vcc_lo, s27, v2, vcc_lo
	v_add_co_u32 v1, vcc_lo, v1, s28
	v_rndne_f32_e32 v7, v7
	v_add_co_ci_u32_e32 v2, vcc_lo, 0, v2, vcc_lo
	s_delay_alu instid0(VALU_DEP_2) | instskip(SKIP_1) | instid1(VALU_DEP_2)
	v_cmp_nlt_f32_e64 s0, 0x42fe0000, v7
	v_cmp_ngt_f32_e32 vcc_lo, 0xc3000000, v7
	v_cndmask_b32_e64 v8, 0x42fe0000, v7, s0
	v_cmp_le_i32_e64 s0, s24, v1
	s_delay_alu instid0(VALU_DEP_2) | instskip(SKIP_2) | instid1(VALU_DEP_3)
	v_cndmask_b32_e32 v7, 0xc3000000, v8, vcc_lo
	v_add_co_u32 v3, vcc_lo, v3, s3
	v_add_co_ci_u32_e32 v4, vcc_lo, 0, v4, vcc_lo
	v_cvt_i32_f32_e32 v7, v7
	s_or_b32 s2, s0, s2
	global_store_b8 v[5:6], v7, off
	s_and_not1_b32 exec_lo, exec_lo, s2
	s_cbranch_execnz .LBB4_8
.LBB4_9:
	s_or_b32 exec_lo, exec_lo, s1
	s_sub_i32 s34, s30, s24
	s_ashr_i32 s25, s24, 31
	s_ashr_i32 s0, s34, 31
	s_mov_b32 s36, exec_lo
	s_lshr_b32 s0, s0, 28
	s_delay_alu instid0(SALU_CYCLE_1) | instskip(NEXT) | instid1(SALU_CYCLE_1)
	s_add_i32 s0, s34, s0
	s_ashr_i32 s35, s0, 4
	s_delay_alu instid0(SALU_CYCLE_1)
	v_cmpx_gt_i32_e64 s35, v0
	s_cbranch_execz .LBB4_12
; %bb.10:
	v_dual_mov_b32 v14, v0 :: v_dual_lshlrev_b32 v1, 4, v0
	s_add_u32 s0, s24, s22
	s_addc_u32 s1, s25, s23
	s_add_u32 s0, s18, s0
	s_addc_u32 s1, s19, s1
	v_add_co_u32 v9, s0, s0, v1
	s_delay_alu instid0(VALU_DEP_1)
	v_add_co_ci_u32_e64 v10, null, s1, 0, s0
	s_lshl_b64 s[0:1], s[24:25], 1
	s_lshl_b32 s37, s28, 4
	v_lshlrev_b32_e32 v1, 5, v0
	s_add_u32 s0, s16, s0
	s_addc_u32 s1, s17, s1
	s_add_u32 s0, s0, s20
	s_addc_u32 s1, s1, s21
	v_add_co_u32 v11, s0, s0, v1
	s_delay_alu instid0(VALU_DEP_1)
	v_add_co_ci_u32_e64 v12, null, s1, 0, s0
	s_mov_b32 s38, 0
	s_lshl_b32 s39, s28, 5
.LBB4_11:                               ; =>This Inner Loop Header: Depth=1
	s_clause 0x1
	global_load_b128 v[5:8], v[11:12], off
	global_load_b128 v[1:4], v[11:12], off offset:16
	v_add_co_u32 v11, vcc_lo, v11, s39
	v_add_co_ci_u32_e32 v12, vcc_lo, 0, v12, vcc_lo
	s_waitcnt vmcnt(1)
	v_lshlrev_b32_e32 v18, 16, v8
	s_waitcnt vmcnt(0)
	v_lshlrev_b32_e32 v22, 16, v4
	v_and_b32_e32 v4, 0xffff0000, v4
	v_lshlrev_b32_e32 v21, 16, v3
	v_lshlrev_b32_e32 v20, 16, v2
	;; [unrolled: 1-line block ×4, first 2 shown]
	s_waitcnt lgkmcnt(0)
	v_div_scale_f32 v53, null, s29, s29, v4
	v_lshlrev_b32_e32 v16, 16, v6
	v_lshlrev_b32_e32 v15, 16, v5
	v_div_scale_f32 v35, null, s29, s29, v18
	s_delay_alu instid0(VALU_DEP_4) | instskip(NEXT) | instid1(VALU_DEP_3)
	v_rcp_f32_e32 v70, v53
	v_div_scale_f32 v27, null, s29, s29, v16
	s_delay_alu instid0(VALU_DEP_2) | instskip(SKIP_1) | instid1(VALU_DEP_2)
	v_rcp_f32_e32 v61, v35
	v_div_scale_f32 v43, null, s29, s29, v20
	v_rcp_f32_e32 v57, v27
	v_div_scale_f32 v51, null, s29, s29, v22
	s_delay_alu instid0(VALU_DEP_2) | instskip(SKIP_2) | instid1(VALU_DEP_3)
	v_rcp_f32_e32 v65, v43
	v_fma_f32 v86, -v53, v70, 1.0
	v_and_b32_e32 v3, 0xffff0000, v3
	v_rcp_f32_e32 v69, v51
	v_fma_f32 v77, -v35, v61, 1.0
	s_delay_alu instid0(VALU_DEP_3) | instskip(NEXT) | instid1(VALU_DEP_3)
	v_fmac_f32_e32 v70, v86, v70
	v_div_scale_f32 v49, null, s29, s29, v3
	s_delay_alu instid0(TRANS32_DEP_3) | instskip(NEXT) | instid1(VALU_DEP_4)
	v_fma_f32 v73, -v27, v57, 1.0
	v_fmac_f32_e32 v61, v77, v61
	v_div_scale_f32 v36, s6, v18, s29, v18
	s_delay_alu instid0(VALU_DEP_4) | instskip(NEXT) | instid1(VALU_DEP_3)
	v_rcp_f32_e32 v68, v49
	v_fmac_f32_e32 v57, v73, v57
	v_div_scale_f32 v28, s2, v16, s29, v16
	v_fma_f32 v81, -v43, v65, 1.0
	v_div_scale_f32 v50, s13, v3, s29, v3
	v_fma_f32 v85, -v51, v69, 1.0
	v_mul_f32_e32 v77, v36, v61
	s_delay_alu instid0(VALU_DEP_4) | instskip(NEXT) | instid1(TRANS32_DEP_1)
	v_fmac_f32_e32 v65, v81, v65
	v_fma_f32 v84, -v49, v68, 1.0
	v_div_scale_f32 v44, s10, v20, s29, v20
	v_fmac_f32_e32 v69, v85, v69
	v_div_scale_f32 v52, s14, v22, s29, v22
	s_delay_alu instid0(VALU_DEP_4) | instskip(SKIP_3) | instid1(VALU_DEP_3)
	v_fmac_f32_e32 v68, v84, v68
	v_div_scale_f32 v47, null, s29, s29, v21
	v_mul_f32_e32 v81, v44, v65
	v_div_scale_f32 v48, s12, v21, s29, v21
	v_rcp_f32_e32 v67, v47
	v_dual_mul_f32 v84, v50, v68 :: v_dual_mul_f32 v85, v52, v69
	v_fma_f32 v93, -v35, v77, v36
	v_mul_f32_e32 v73, v28, v57
	s_delay_alu instid0(VALU_DEP_2) | instskip(NEXT) | instid1(VALU_DEP_4)
	v_fmac_f32_e32 v77, v93, v61
	v_fma_f32 v93, -v49, v84, v50
	s_waitcnt_depctr 0xfff
	v_fma_f32 v83, -v47, v67, 1.0
	v_and_b32_e32 v2, 0xffff0000, v2
	v_fma_f32 v89, -v27, v73, v28
	s_delay_alu instid0(VALU_DEP_3) | instskip(NEXT) | instid1(VALU_DEP_3)
	v_fmac_f32_e32 v67, v83, v67
	v_div_scale_f32 v45, null, s29, s29, v2
	v_div_scale_f32 v46, s11, v2, s29, v2
	s_delay_alu instid0(VALU_DEP_3) | instskip(NEXT) | instid1(VALU_DEP_3)
	v_mul_f32_e32 v83, v48, v67
	v_rcp_f32_e32 v66, v45
	v_fmac_f32_e32 v73, v89, v57
	s_waitcnt_depctr 0xfff
	v_fma_f32 v82, -v45, v66, 1.0
	s_delay_alu instid0(VALU_DEP_1) | instskip(NEXT) | instid1(VALU_DEP_1)
	v_dual_fmac_f32 v66, v82, v66 :: v_dual_and_b32 v1, 0xffff0000, v1
	v_div_scale_f32 v41, null, s29, s29, v1
	v_div_scale_f32 v42, s9, v1, s29, v1
	s_delay_alu instid0(VALU_DEP_3) | instskip(NEXT) | instid1(VALU_DEP_3)
	v_mul_f32_e32 v82, v46, v66
	v_rcp_f32_e32 v64, v41
	s_waitcnt_depctr 0xfff
	v_fma_f32 v80, -v41, v64, 1.0
	s_delay_alu instid0(VALU_DEP_1) | instskip(SKIP_2) | instid1(VALU_DEP_3)
	v_fmac_f32_e32 v64, v80, v64
	v_div_scale_f32 v39, null, s29, s29, v19
	v_div_scale_f32 v40, s8, v19, s29, v19
	v_mul_f32_e32 v80, v42, v64
	s_delay_alu instid0(VALU_DEP_3) | instskip(NEXT) | instid1(VALU_DEP_1)
	v_rcp_f32_e32 v63, v39
	v_fma_f32 v89, -v41, v80, v42
	s_waitcnt_depctr 0xfff
	v_fma_f32 v79, -v39, v63, 1.0
	s_delay_alu instid0(VALU_DEP_1) | instskip(NEXT) | instid1(VALU_DEP_1)
	v_dual_fmac_f32 v63, v79, v63 :: v_dual_and_b32 v8, 0xffff0000, v8
	v_div_scale_f32 v37, null, s29, s29, v8
	v_div_scale_f32 v38, s7, v8, s29, v8
	s_delay_alu instid0(VALU_DEP_3) | instskip(NEXT) | instid1(VALU_DEP_3)
	v_mul_f32_e32 v79, v40, v63
	v_rcp_f32_e32 v62, v37
	s_waitcnt_depctr 0xfff
	v_fma_f32 v78, -v37, v62, 1.0
	s_delay_alu instid0(VALU_DEP_1) | instskip(NEXT) | instid1(VALU_DEP_1)
	v_dual_fmac_f32 v62, v78, v62 :: v_dual_and_b32 v7, 0xffff0000, v7
	v_div_scale_f32 v33, null, s29, s29, v7
	v_div_scale_f32 v34, s5, v7, s29, v7
	s_delay_alu instid0(VALU_DEP_3) | instskip(NEXT) | instid1(VALU_DEP_3)
	v_mul_f32_e32 v78, v38, v62
	v_rcp_f32_e32 v60, v33
	s_waitcnt_depctr 0xfff
	v_fma_f32 v76, -v33, v60, 1.0
	s_delay_alu instid0(VALU_DEP_1) | instskip(SKIP_2) | instid1(VALU_DEP_3)
	v_fmac_f32_e32 v60, v76, v60
	v_div_scale_f32 v31, null, s29, s29, v17
	v_div_scale_f32 v32, s4, v17, s29, v17
	v_mul_f32_e32 v76, v34, v60
	s_delay_alu instid0(VALU_DEP_3) | instskip(NEXT) | instid1(VALU_DEP_1)
	v_rcp_f32_e32 v59, v31
	v_fma_f32 v92, -v33, v76, v34
	s_delay_alu instid0(VALU_DEP_1) | instskip(SKIP_4) | instid1(VALU_DEP_3)
	v_fmac_f32_e32 v76, v92, v60
	s_waitcnt_depctr 0xfff
	v_fma_f32 v75, -v31, v59, 1.0
	v_and_b32_e32 v6, 0xffff0000, v6
	v_fma_f32 v92, -v47, v83, v48
	v_fmac_f32_e32 v59, v75, v59
	s_delay_alu instid0(VALU_DEP_3) | instskip(SKIP_1) | instid1(VALU_DEP_3)
	v_div_scale_f32 v29, null, s29, s29, v6
	v_div_scale_f32 v30, s3, v6, s29, v6
	v_mul_f32_e32 v75, v32, v59
	s_delay_alu instid0(VALU_DEP_3) | instskip(SKIP_1) | instid1(VALU_DEP_2)
	v_rcp_f32_e32 v58, v29
	v_fmac_f32_e32 v83, v92, v67
	v_fma_f32 v91, -v31, v75, v32
	s_delay_alu instid0(VALU_DEP_1) | instskip(SKIP_4) | instid1(VALU_DEP_3)
	v_fmac_f32_e32 v75, v91, v59
	s_waitcnt_depctr 0xfff
	v_fma_f32 v74, -v29, v58, 1.0
	v_and_b32_e32 v5, 0xffff0000, v5
	v_fma_f32 v91, -v45, v82, v46
	v_fmac_f32_e32 v58, v74, v58
	s_delay_alu instid0(VALU_DEP_3) | instskip(SKIP_1) | instid1(VALU_DEP_3)
	v_div_scale_f32 v25, null, s29, s29, v5
	v_div_scale_f32 v26, s1, v5, s29, v5
	v_mul_f32_e32 v74, v30, v58
	s_delay_alu instid0(VALU_DEP_3) | instskip(SKIP_1) | instid1(VALU_DEP_2)
	v_rcp_f32_e32 v56, v25
	v_fmac_f32_e32 v82, v91, v66
	v_fma_f32 v90, -v29, v74, v30
	s_delay_alu instid0(VALU_DEP_1) | instskip(SKIP_4) | instid1(VALU_DEP_2)
	v_fmac_f32_e32 v74, v90, v58
	s_waitcnt_depctr 0xfff
	v_fma_f32 v72, -v25, v56, 1.0
	v_fma_f32 v90, -v43, v81, v44
	v_fmac_f32_e32 v80, v89, v64
	v_dual_fmac_f32 v56, v72, v56 :: v_dual_fmac_f32 v81, v90, v65
	v_div_scale_f32 v23, null, s29, s29, v15
	v_div_scale_f32 v24, vcc_lo, v15, s29, v15
	s_delay_alu instid0(VALU_DEP_3) | instskip(NEXT) | instid1(VALU_DEP_3)
	v_mul_f32_e32 v72, v26, v56
	v_rcp_f32_e32 v55, v23
	s_delay_alu instid0(VALU_DEP_1) | instskip(NEXT) | instid1(VALU_DEP_1)
	v_fma_f32 v88, -v25, v72, v26
	v_fmac_f32_e32 v72, v88, v56
	s_waitcnt_depctr 0xfff
	v_fma_f32 v71, -v23, v55, 1.0
	v_add_nc_u32_e32 v14, s28, v14
	v_fma_f32 v88, -v39, v79, v40
	s_delay_alu instid0(VALU_DEP_3) | instskip(NEXT) | instid1(VALU_DEP_3)
	v_fmac_f32_e32 v55, v71, v55
	v_cmp_le_i32_e64 s0, s35, v14
	s_delay_alu instid0(VALU_DEP_3) | instskip(NEXT) | instid1(VALU_DEP_3)
	v_fmac_f32_e32 v79, v88, v63
	v_mul_f32_e32 v71, v24, v55
	v_div_scale_f32 v54, s15, v4, s29, v4
	s_delay_alu instid0(VALU_DEP_4) | instskip(NEXT) | instid1(VALU_DEP_2)
	s_or_b32 s38, s0, s38
	v_fma_f32 v87, -v23, v71, v24
	s_delay_alu instid0(VALU_DEP_1) | instskip(SKIP_1) | instid1(VALU_DEP_2)
	v_dual_mul_f32 v86, v54, v70 :: v_dual_fmac_f32 v71, v87, v55
	v_fma_f32 v87, -v37, v78, v38
	v_fma_f32 v88, -v53, v86, v54
	s_delay_alu instid0(VALU_DEP_3)
	v_fma_f32 v23, -v23, v71, v24
	v_fma_f32 v24, -v25, v72, v26
	;; [unrolled: 1-line block ×5, first 2 shown]
	v_div_fmas_f32 v23, v23, v55, v71
	s_mov_b32 vcc_lo, s1
	v_fmac_f32_e32 v78, v87, v62
	v_div_fmas_f32 v24, v24, v56, v72
	s_mov_b32 vcc_lo, s2
	v_div_fixup_f32 v15, v23, s29, v15
	v_div_fmas_f32 v25, v25, v57, v73
	s_mov_b32 vcc_lo, s3
	v_fma_f32 v28, -v33, v76, v34
	v_div_fmas_f32 v23, v26, v58, v74
	s_mov_b32 vcc_lo, s4
	v_fma_f32 v29, -v35, v77, v36
	v_div_fixup_f32 v5, v24, s29, v5
	v_div_fmas_f32 v24, v27, v59, v75
	s_mov_b32 vcc_lo, s5
	v_fma_f32 v30, -v37, v78, v38
	v_rndne_f32_e32 v15, v15
	v_div_fixup_f32 v16, v25, s29, v16
	v_div_fmas_f32 v25, v28, v60, v76
	s_mov_b32 vcc_lo, s6
	v_div_fixup_f32 v6, v23, s29, v6
	v_div_fmas_f32 v23, v29, v61, v77
	s_mov_b32 vcc_lo, s7
	v_div_fixup_f32 v17, v24, s29, v17
	v_div_fmas_f32 v24, v30, v62, v78
	v_cmp_nlt_f32_e32 vcc_lo, 0x42fe0000, v15
	v_fma_f32 v31, -v39, v79, v40
	v_rndne_f32_e32 v5, v5
	v_cmp_ngt_f32_e64 s1, 0xc3000000, v15
	v_fma_f32 v32, -v41, v80, v42
	v_cndmask_b32_e32 v26, 0x42fe0000, v15, vcc_lo
	s_mov_b32 vcc_lo, s8
	v_rndne_f32_e32 v16, v16
	v_div_fmas_f32 v15, v31, v63, v79
	v_cmp_nlt_f32_e32 vcc_lo, 0x42fe0000, v5
	v_fmac_f32_e32 v86, v88, v70
	v_div_fixup_f32 v7, v25, s29, v7
	v_cmp_ngt_f32_e64 s2, 0xc3000000, v5
	v_fma_f32 v33, -v43, v81, v44
	v_cndmask_b32_e32 v25, 0x42fe0000, v5, vcc_lo
	s_mov_b32 vcc_lo, s9
	v_div_fixup_f32 v5, v23, s29, v18
	v_div_fmas_f32 v18, v32, v64, v80
	v_cmp_nlt_f32_e32 vcc_lo, 0x42fe0000, v16
	v_rndne_f32_e32 v6, v6
	v_div_fixup_f32 v8, v24, s29, v8
	v_fma_f32 v34, -v45, v82, v46
	v_rndne_f32_e32 v17, v17
	v_cndmask_b32_e32 v23, 0x42fe0000, v16, vcc_lo
	s_mov_b32 vcc_lo, s10
	v_cmp_ngt_f32_e64 s3, 0xc3000000, v16
	v_div_fmas_f32 v24, v33, v65, v81
	v_cmp_nlt_f32_e32 vcc_lo, 0x42fe0000, v6
	v_cndmask_b32_e64 v16, 0xc3000000, v26, s1
	v_cmp_ngt_f32_e64 s1, 0xc3000000, v6
	v_fma_f32 v35, -v47, v83, v48
	v_rndne_f32_e32 v7, v7
	v_cndmask_b32_e32 v26, 0x42fe0000, v6, vcc_lo
	s_mov_b32 vcc_lo, s11
	v_div_fixup_f32 v6, v15, s29, v19
	v_div_fmas_f32 v19, v34, v66, v82
	v_cmp_nlt_f32_e32 vcc_lo, 0x42fe0000, v17
	v_fma_f32 v87, -v51, v85, v52
	v_fmac_f32_e32 v84, v93, v68
	v_cndmask_b32_e64 v15, 0xc3000000, v25, s2
	v_div_fixup_f32 v1, v18, s29, v1
	v_cndmask_b32_e32 v25, 0x42fe0000, v17, vcc_lo
	s_mov_b32 vcc_lo, s12
	v_fmac_f32_e32 v85, v87, v69
	v_div_fmas_f32 v18, v35, v67, v83
	v_cmp_nlt_f32_e32 vcc_lo, 0x42fe0000, v7
	v_fma_f32 v36, -v49, v84, v50
	v_rndne_f32_e32 v5, v5
	v_cmp_ngt_f32_e64 s2, 0xc3000000, v17
	v_cndmask_b32_e64 v17, 0xc3000000, v23, s3
	v_cndmask_b32_e32 v23, 0x42fe0000, v7, vcc_lo
	s_mov_b32 vcc_lo, s13
	v_cmp_ngt_f32_e64 s3, 0xc3000000, v7
	v_div_fixup_f32 v7, v24, s29, v20
	v_div_fmas_f32 v24, v36, v68, v84
	v_cmp_nlt_f32_e32 vcc_lo, 0x42fe0000, v5
	v_fma_f32 v37, -v51, v85, v52
	v_rndne_f32_e32 v8, v8
	v_cndmask_b32_e64 v20, 0xc3000000, v26, s1
	v_div_fixup_f32 v2, v19, s29, v2
	v_cndmask_b32_e32 v26, 0x42fe0000, v5, vcc_lo
	s_mov_b32 vcc_lo, s14
	v_fma_f32 v38, -v53, v86, v54
	v_div_fmas_f32 v19, v37, v69, v85
	v_cmp_nlt_f32_e32 vcc_lo, 0x42fe0000, v8
	v_rndne_f32_e32 v6, v6
	v_cmp_ngt_f32_e64 s1, 0xc3000000, v5
	v_cndmask_b32_e64 v5, 0xc3000000, v25, s2
	v_rndne_f32_e32 v1, v1
	v_cndmask_b32_e32 v25, 0x42fe0000, v8, vcc_lo
	s_mov_b32 vcc_lo, s15
	v_cmp_ngt_f32_e64 s2, 0xc3000000, v8
	v_div_fixup_f32 v8, v18, s29, v21
	v_div_fmas_f32 v21, v38, v70, v86
	v_cmp_nlt_f32_e32 vcc_lo, 0x42fe0000, v6
	v_cndmask_b32_e64 v18, 0xc3000000, v23, s3
	v_rndne_f32_e32 v7, v7
	v_cvt_i32_f32_e32 v16, v16
	v_cvt_i32_f32_e32 v15, v15
	v_cndmask_b32_e32 v23, 0x42fe0000, v6, vcc_lo
	v_cmp_ngt_f32_e32 vcc_lo, 0xc3000000, v6
	v_cndmask_b32_e64 v6, 0xc3000000, v26, s1
	v_cmp_nlt_f32_e64 s1, 0x42fe0000, v1
	v_div_fixup_f32 v3, v24, s29, v3
	v_rndne_f32_e32 v2, v2
	v_and_b32_e32 v16, 0xff, v16
	v_lshlrev_b16 v15, 8, v15
	v_cndmask_b32_e64 v24, 0x42fe0000, v1, s1
	v_cmp_ngt_f32_e64 s1, 0xc3000000, v1
	v_div_fixup_f32 v1, v19, s29, v22
	v_cndmask_b32_e64 v19, 0xc3000000, v25, s2
	v_cmp_nlt_f32_e64 s2, 0x42fe0000, v7
	v_rndne_f32_e32 v8, v8
	v_cvt_i32_f32_e32 v17, v17
	v_cvt_i32_f32_e32 v20, v20
	v_div_fixup_f32 v4, v21, s29, v4
	v_cndmask_b32_e64 v22, 0x42fe0000, v7, s2
	v_cmp_ngt_f32_e64 s2, 0xc3000000, v7
	v_cndmask_b32_e32 v7, 0xc3000000, v23, vcc_lo
	v_cmp_nlt_f32_e32 vcc_lo, 0x42fe0000, v2
	v_rndne_f32_e32 v3, v3
	v_and_b32_e32 v17, 0xff, v17
	v_lshlrev_b16 v20, 8, v20
	v_rndne_f32_e32 v1, v1
	v_cndmask_b32_e32 v21, 0x42fe0000, v2, vcc_lo
	v_cmp_ngt_f32_e32 vcc_lo, 0xc3000000, v2
	v_or_b32_e32 v2, v16, v15
	v_cndmask_b32_e64 v15, 0xc3000000, v24, s1
	v_cmp_nlt_f32_e64 s1, 0x42fe0000, v8
	v_cvt_i32_f32_e32 v16, v19
	v_rndne_f32_e32 v4, v4
	v_cvt_i32_f32_e32 v5, v5
	v_cvt_i32_f32_e32 v18, v18
	v_cndmask_b32_e64 v19, 0x42fe0000, v8, s1
	v_cmp_ngt_f32_e64 s1, 0xc3000000, v8
	v_cndmask_b32_e64 v8, 0xc3000000, v22, s2
	v_cmp_nlt_f32_e64 s2, 0x42fe0000, v3
	v_cvt_i32_f32_e32 v6, v6
	v_and_b32_e32 v5, 0xff, v5
	v_lshlrev_b16 v18, 8, v18
	v_lshlrev_b16 v16, 8, v16
	v_cndmask_b32_e64 v22, 0x42fe0000, v3, s2
	v_cmp_ngt_f32_e64 s2, 0xc3000000, v3
	v_or_b32_e32 v3, v17, v20
	v_cndmask_b32_e32 v17, 0xc3000000, v21, vcc_lo
	v_cmp_nlt_f32_e32 vcc_lo, 0x42fe0000, v1
	v_and_b32_e32 v6, 0xff, v6
	v_cvt_i32_f32_e32 v7, v7
	v_and_b32_e32 v2, 0xffff, v2
	v_cvt_i32_f32_e32 v15, v15
	v_cndmask_b32_e32 v20, 0x42fe0000, v1, vcc_lo
	v_cmp_ngt_f32_e32 vcc_lo, 0xc3000000, v1
	v_cndmask_b32_e64 v1, 0xc3000000, v19, s1
	v_cmp_nlt_f32_e64 s1, 0x42fe0000, v4
	v_cvt_i32_f32_e32 v8, v8
	v_lshlrev_b32_e32 v3, 16, v3
	v_cvt_i32_f32_e32 v17, v17
	v_or_b32_e32 v6, v6, v16
	v_cndmask_b32_e64 v19, 0x42fe0000, v4, s1
	v_cmp_ngt_f32_e64 s1, 0xc3000000, v4
	v_or_b32_e32 v4, v5, v18
	v_cndmask_b32_e64 v5, 0xc3000000, v22, s2
	v_cndmask_b32_e32 v18, 0xc3000000, v20, vcc_lo
	v_and_b32_e32 v7, 0xff, v7
	v_cndmask_b32_e64 v16, 0xc3000000, v19, s1
	v_lshlrev_b16 v15, 8, v15
	v_cvt_i32_f32_e32 v20, v1
	v_and_b32_e32 v8, 0xff, v8
	v_and_b32_e32 v4, 0xffff, v4
	v_cvt_i32_f32_e32 v5, v5
	v_or_b32_e32 v1, v2, v3
	v_lshlrev_b16 v2, 8, v17
	v_cvt_i32_f32_e32 v3, v18
	v_lshlrev_b32_e32 v6, 16, v6
	v_cvt_i32_f32_e32 v16, v16
	v_or_b32_e32 v7, v7, v15
	v_and_b32_e32 v15, 0xff, v20
	v_lshlrev_b16 v5, 8, v5
	v_or_b32_e32 v8, v8, v2
	v_and_b32_e32 v3, 0xff, v3
	v_or_b32_e32 v2, v4, v6
	v_lshlrev_b16 v4, 8, v16
	v_or_b32_e32 v5, v15, v5
	v_and_b32_e32 v7, 0xffff, v7
	v_lshlrev_b32_e32 v6, 16, v8
	s_delay_alu instid0(VALU_DEP_4) | instskip(NEXT) | instid1(VALU_DEP_4)
	v_or_b32_e32 v4, v3, v4
	v_and_b32_e32 v5, 0xffff, v5
	s_delay_alu instid0(VALU_DEP_3) | instskip(NEXT) | instid1(VALU_DEP_3)
	v_or_b32_e32 v3, v7, v6
	v_lshlrev_b32_e32 v4, 16, v4
	s_delay_alu instid0(VALU_DEP_1)
	v_or_b32_e32 v4, v5, v4
	global_store_b128 v[9:10], v[1:4], off
	v_add_co_u32 v9, vcc_lo, v9, s37
	v_add_co_ci_u32_e32 v10, vcc_lo, 0, v10, vcc_lo
	s_and_not1_b32 exec_lo, exec_lo, s38
	s_cbranch_execnz .LBB4_11
.LBB4_12:
	s_or_b32 exec_lo, exec_lo, s36
	v_lshl_add_u32 v1, s35, 4, v0
	s_mov_b32 s1, exec_lo
	s_delay_alu instid0(VALU_DEP_1)
	v_cmpx_gt_i32_e64 s34, v1
	s_cbranch_execz .LBB4_20
; %bb.13:
	v_rcp_iflag_f32_e32 v2, v13
	s_add_u32 s2, s26, s24
	s_addc_u32 s3, s27, s25
	s_sub_i32 s0, 0, s28
	v_add_nc_u32_e32 v4, s28, v1
	s_cmp_eq_u32 s28, 1
	s_mov_b32 s5, 0
	s_delay_alu instid0(VALU_DEP_1) | instskip(SKIP_3) | instid1(VALU_DEP_2)
	v_cmp_gt_i32_e32 vcc_lo, s34, v4
	s_waitcnt_depctr 0xfff
	v_mul_f32_e32 v2, 0x4f7ffffe, v2
	v_max_i32_e32 v5, s34, v4
	v_cvt_u32_f32_e32 v2, v2
	s_delay_alu instid0(VALU_DEP_1) | instskip(SKIP_1) | instid1(VALU_DEP_1)
	v_mul_lo_u32 v3, s0, v2
	v_add_co_ci_u32_e64 v4, s0, s28, v1, vcc_lo
	v_sub_nc_u32_e32 v4, v5, v4
	s_delay_alu instid0(VALU_DEP_3) | instskip(NEXT) | instid1(VALU_DEP_1)
	v_mul_hi_u32 v3, v2, v3
	v_add_nc_u32_e32 v2, v2, v3
	s_delay_alu instid0(VALU_DEP_1) | instskip(NEXT) | instid1(VALU_DEP_1)
	v_mul_hi_u32 v2, v4, v2
	v_mul_lo_u32 v3, v2, s28
	s_delay_alu instid0(VALU_DEP_1) | instskip(SKIP_1) | instid1(VALU_DEP_2)
	v_sub_nc_u32_e32 v3, v4, v3
	v_add_nc_u32_e32 v4, 1, v2
	v_subrev_nc_u32_e32 v5, s28, v3
	v_cmp_le_u32_e64 s0, s28, v3
	s_delay_alu instid0(VALU_DEP_1) | instskip(NEXT) | instid1(VALU_DEP_3)
	v_cndmask_b32_e64 v2, v2, v4, s0
	v_cndmask_b32_e64 v3, v3, v5, s0
	s_delay_alu instid0(VALU_DEP_2) | instskip(NEXT) | instid1(VALU_DEP_2)
	v_add_nc_u32_e32 v4, 1, v2
	v_cmp_le_u32_e64 s0, s28, v3
	s_delay_alu instid0(VALU_DEP_1) | instskip(SKIP_1) | instid1(VALU_DEP_1)
	v_cndmask_b32_e64 v2, v2, v4, s0
	s_cselect_b32 s0, -1, 0
	v_add_co_ci_u32_e32 v4, vcc_lo, 1, v2, vcc_lo
	s_delay_alu instid0(VALU_DEP_1)
	v_cmp_lt_u32_e32 vcc_lo, 1, v4
	s_and_b32 s6, vcc_lo, s0
	s_mov_b32 s0, -1
	s_and_saveexec_b32 s4, s6
	s_cbranch_execz .LBB4_17
; %bb.14:
	v_dual_mov_b32 v2, v1 :: v_dual_and_b32 v5, -2, v4
	s_lshl_b64 s[6:7], s[24:25], 1
	s_waitcnt lgkmcnt(0)
	s_mov_b32 s8, s29
	s_add_u32 s6, s31, s6
	v_mov_b32_e32 v6, v5
	s_addc_u32 s7, s33, s7
.LBB4_15:                               ; =>This Inner Loop Header: Depth=1
	v_ashrrev_i32_e32 v3, 31, v2
	s_delay_alu instid0(VALU_DEP_2) | instskip(NEXT) | instid1(VALU_DEP_2)
	v_add_nc_u32_e32 v6, -2, v6
	v_lshlrev_b64 v[7:8], 1, v[2:3]
	s_delay_alu instid0(VALU_DEP_1) | instskip(NEXT) | instid1(VALU_DEP_2)
	v_add_co_u32 v7, vcc_lo, s6, v7
	v_add_co_ci_u32_e32 v8, vcc_lo, s7, v8, vcc_lo
	global_load_b32 v7, v[7:8], off
	s_waitcnt vmcnt(0)
	v_and_b32_e32 v8, 0xffff0000, v7
	v_lshlrev_b32_e32 v7, 16, v7
	s_delay_alu instid0(VALU_DEP_2) | instskip(NEXT) | instid1(VALU_DEP_2)
	v_div_scale_f32 v9, null, s8, s8, v8
	v_div_scale_f32 v10, null, s29, s29, v7
	v_div_scale_f32 v15, vcc_lo, v8, s8, v8
	s_delay_alu instid0(VALU_DEP_3) | instskip(NEXT) | instid1(VALU_DEP_2)
	v_rcp_f32_e32 v11, v9
	v_rcp_f32_e32 v12, v10
	s_waitcnt_depctr 0xfff
	v_fma_f32 v13, -v9, v11, 1.0
	v_fma_f32 v14, -v10, v12, 1.0
	s_delay_alu instid0(VALU_DEP_1) | instskip(SKIP_1) | instid1(VALU_DEP_1)
	v_dual_fmac_f32 v12, v14, v12 :: v_dual_fmac_f32 v11, v13, v11
	v_div_scale_f32 v13, s0, v7, s29, v7
	v_mul_f32_e32 v16, v13, v12
	s_delay_alu instid0(VALU_DEP_1) | instskip(NEXT) | instid1(VALU_DEP_1)
	v_fma_f32 v18, -v10, v16, v13
	v_fmac_f32_e32 v16, v18, v12
	v_mul_f32_e32 v14, v15, v11
	s_delay_alu instid0(VALU_DEP_2) | instskip(NEXT) | instid1(VALU_DEP_2)
	v_fma_f32 v10, -v10, v16, v13
	v_fma_f32 v17, -v9, v14, v15
	s_delay_alu instid0(VALU_DEP_1) | instskip(NEXT) | instid1(VALU_DEP_1)
	v_fmac_f32_e32 v14, v17, v11
	v_fma_f32 v9, -v9, v14, v15
	s_delay_alu instid0(VALU_DEP_1) | instskip(SKIP_2) | instid1(VALU_DEP_2)
	v_div_fmas_f32 v9, v9, v11, v14
	s_mov_b32 vcc_lo, s0
	v_div_fmas_f32 v10, v10, v12, v16
	v_div_fixup_f32 v8, v9, s8, v8
	s_delay_alu instid0(VALU_DEP_2) | instskip(NEXT) | instid1(VALU_DEP_2)
	v_div_fixup_f32 v7, v10, s29, v7
	v_rndne_f32_e32 v8, v8
	s_delay_alu instid0(VALU_DEP_2) | instskip(NEXT) | instid1(VALU_DEP_2)
	v_rndne_f32_e32 v7, v7
	v_cmp_nlt_f32_e32 vcc_lo, 0x42fe0000, v8
	v_cndmask_b32_e32 v9, 0x42fe0000, v8, vcc_lo
	s_delay_alu instid0(VALU_DEP_3) | instskip(SKIP_2) | instid1(VALU_DEP_4)
	v_cmp_nlt_f32_e32 vcc_lo, 0x42fe0000, v7
	v_cndmask_b32_e32 v10, 0x42fe0000, v7, vcc_lo
	v_cmp_ngt_f32_e32 vcc_lo, 0xc3000000, v8
	v_cndmask_b32_e32 v8, 0xc3000000, v9, vcc_lo
	v_cmp_ngt_f32_e32 vcc_lo, 0xc3000000, v7
	s_delay_alu instid0(VALU_DEP_2) | instskip(SKIP_2) | instid1(VALU_DEP_3)
	v_cvt_i32_f32_e32 v8, v8
	v_cndmask_b32_e32 v7, 0xc3000000, v10, vcc_lo
	v_cmp_eq_u32_e32 vcc_lo, 0, v6
	v_lshlrev_b16 v9, 8, v8
	s_delay_alu instid0(VALU_DEP_3) | instskip(SKIP_1) | instid1(VALU_DEP_1)
	v_cvt_i32_f32_e32 v7, v7
	s_or_b32 s5, vcc_lo, s5
	v_and_b32_e32 v10, 0xff, v7
	v_add_co_u32 v7, s0, s2, v2
	s_delay_alu instid0(VALU_DEP_1) | instskip(NEXT) | instid1(VALU_DEP_3)
	v_add_co_ci_u32_e64 v8, s0, s3, v3, s0
	v_or_b32_e32 v3, v10, v9
	v_add_nc_u32_e32 v2, 2, v2
	global_store_b16 v[7:8], v3, off
	s_and_not1_b32 exec_lo, exec_lo, s5
	s_cbranch_execnz .LBB4_15
; %bb.16:
	s_or_b32 exec_lo, exec_lo, s5
	v_cmp_ne_u32_e32 vcc_lo, v4, v5
	v_add_nc_u32_e32 v1, v1, v5
	s_or_not1_b32 s0, vcc_lo, exec_lo
.LBB4_17:
	s_or_b32 exec_lo, exec_lo, s4
	s_delay_alu instid0(SALU_CYCLE_1)
	s_and_b32 exec_lo, exec_lo, s0
	s_cbranch_execz .LBB4_20
; %bb.18:
	v_ashrrev_i32_e32 v2, 31, v1
	s_lshl_b64 s[4:5], s[24:25], 1
	s_delay_alu instid0(SALU_CYCLE_1) | instskip(SKIP_1) | instid1(VALU_DEP_1)
	s_add_u32 s0, s20, s4
	s_addc_u32 s4, s21, s5
	v_lshlrev_b64 v[3:4], 1, v[1:2]
	s_add_u32 s0, s16, s0
	s_addc_u32 s4, s17, s4
	s_lshl_b32 s5, s28, 1
	s_delay_alu instid0(VALU_DEP_1) | instskip(NEXT) | instid1(VALU_DEP_2)
	v_add_co_u32 v3, vcc_lo, s0, v3
	v_add_co_ci_u32_e32 v4, vcc_lo, s4, v4, vcc_lo
	s_mov_b32 s4, 0
.LBB4_19:                               ; =>This Inner Loop Header: Depth=1
	global_load_u16 v5, v[3:4], off
	s_waitcnt vmcnt(0)
	v_lshlrev_b32_e32 v6, 16, v5
	s_waitcnt lgkmcnt(0)
	s_delay_alu instid0(VALU_DEP_1) | instskip(NEXT) | instid1(VALU_DEP_1)
	v_div_scale_f32 v5, null, s29, s29, v6
	v_rcp_f32_e32 v7, v5
	s_waitcnt_depctr 0xfff
	v_fma_f32 v8, -v5, v7, 1.0
	s_delay_alu instid0(VALU_DEP_1) | instskip(SKIP_1) | instid1(VALU_DEP_1)
	v_fmac_f32_e32 v7, v8, v7
	v_div_scale_f32 v9, vcc_lo, v6, s29, v6
	v_mul_f32_e32 v8, v9, v7
	s_delay_alu instid0(VALU_DEP_1) | instskip(NEXT) | instid1(VALU_DEP_1)
	v_fma_f32 v10, -v5, v8, v9
	v_fmac_f32_e32 v8, v10, v7
	s_delay_alu instid0(VALU_DEP_1) | instskip(NEXT) | instid1(VALU_DEP_1)
	v_fma_f32 v5, -v5, v8, v9
	v_div_fmas_f32 v7, v5, v7, v8
	v_add_co_u32 v5, vcc_lo, s2, v1
	s_delay_alu instid0(VALU_DEP_2) | instskip(SKIP_2) | instid1(VALU_DEP_3)
	v_div_fixup_f32 v7, v7, s29, v6
	v_add_co_ci_u32_e32 v6, vcc_lo, s3, v2, vcc_lo
	v_add_co_u32 v1, vcc_lo, v1, s28
	v_rndne_f32_e32 v7, v7
	v_add_co_ci_u32_e32 v2, vcc_lo, 0, v2, vcc_lo
	s_delay_alu instid0(VALU_DEP_2) | instskip(SKIP_1) | instid1(VALU_DEP_2)
	v_cmp_nlt_f32_e64 s0, 0x42fe0000, v7
	v_cmp_ngt_f32_e32 vcc_lo, 0xc3000000, v7
	v_cndmask_b32_e64 v8, 0x42fe0000, v7, s0
	v_cmp_le_i32_e64 s0, s34, v1
	s_delay_alu instid0(VALU_DEP_2) | instskip(SKIP_2) | instid1(VALU_DEP_3)
	v_cndmask_b32_e32 v7, 0xc3000000, v8, vcc_lo
	v_add_co_u32 v3, vcc_lo, v3, s5
	v_add_co_ci_u32_e32 v4, vcc_lo, 0, v4, vcc_lo
	v_cvt_i32_f32_e32 v7, v7
	s_or_b32 s4, s0, s4
	global_store_b8 v[5:6], v7, off
	s_and_not1_b32 exec_lo, exec_lo, s4
	s_cbranch_execnz .LBB4_19
.LBB4_20:
	s_or_b32 exec_lo, exec_lo, s1
	s_mov_b32 s0, 0
.LBB4_21:
	s_delay_alu instid0(SALU_CYCLE_1)
	s_and_b32 vcc_lo, exec_lo, s0
	s_cbranch_vccz .LBB4_25
; %bb.22:
	s_ashr_i32 s24, s30, 4
	s_mov_b32 s0, exec_lo
	v_cmpx_gt_i32_e64 s24, v0
	s_cbranch_execz .LBB4_25
; %bb.23:
	v_lshlrev_b32_e32 v1, 4, v0
	s_add_u32 s0, s18, s22
	s_addc_u32 s1, s19, s23
	s_lshl_b32 s18, s28, 4
	s_delay_alu instid0(VALU_DEP_1) | instskip(SKIP_4) | instid1(VALU_DEP_2)
	v_add_co_u32 v9, s0, s0, v1
	v_lshlrev_b32_e32 v1, 5, v0
	v_add_co_ci_u32_e64 v10, null, s1, 0, s0
	s_add_u32 s0, s16, s20
	s_addc_u32 s1, s17, s21
	v_add_co_u32 v11, s0, s0, v1
	s_delay_alu instid0(VALU_DEP_1)
	v_add_co_ci_u32_e64 v12, null, s1, 0, s0
	s_mov_b32 s16, 0
	s_lshl_b32 s17, s28, 5
.LBB4_24:                               ; =>This Inner Loop Header: Depth=1
	s_clause 0x1
	global_load_b128 v[5:8], v[11:12], off
	global_load_b128 v[1:4], v[11:12], off offset:16
	v_add_co_u32 v11, vcc_lo, v11, s17
	v_add_co_ci_u32_e32 v12, vcc_lo, 0, v12, vcc_lo
	s_waitcnt vmcnt(1)
	v_lshlrev_b32_e32 v16, 16, v8
	s_waitcnt vmcnt(0)
	v_lshlrev_b32_e32 v20, 16, v4
	v_and_b32_e32 v4, 0xffff0000, v4
	v_lshlrev_b32_e32 v19, 16, v3
	v_lshlrev_b32_e32 v18, 16, v2
	;; [unrolled: 1-line block ×4, first 2 shown]
	s_waitcnt lgkmcnt(0)
	v_div_scale_f32 v51, null, s29, s29, v4
	v_lshlrev_b32_e32 v14, 16, v6
	v_lshlrev_b32_e32 v13, 16, v5
	v_div_scale_f32 v33, null, s29, s29, v16
	s_delay_alu instid0(VALU_DEP_4) | instskip(NEXT) | instid1(VALU_DEP_3)
	v_rcp_f32_e32 v68, v51
	v_div_scale_f32 v25, null, s29, s29, v14
	s_delay_alu instid0(VALU_DEP_2) | instskip(SKIP_1) | instid1(VALU_DEP_2)
	v_rcp_f32_e32 v59, v33
	v_div_scale_f32 v41, null, s29, s29, v18
	v_rcp_f32_e32 v55, v25
	v_div_scale_f32 v49, null, s29, s29, v20
	s_delay_alu instid0(VALU_DEP_2) | instskip(SKIP_2) | instid1(VALU_DEP_3)
	v_rcp_f32_e32 v63, v41
	v_fma_f32 v84, -v51, v68, 1.0
	v_and_b32_e32 v3, 0xffff0000, v3
	v_rcp_f32_e32 v67, v49
	v_fma_f32 v75, -v33, v59, 1.0
	s_delay_alu instid0(VALU_DEP_3) | instskip(NEXT) | instid1(VALU_DEP_3)
	v_fmac_f32_e32 v68, v84, v68
	v_div_scale_f32 v47, null, s29, s29, v3
	s_delay_alu instid0(TRANS32_DEP_3) | instskip(NEXT) | instid1(VALU_DEP_4)
	v_fma_f32 v71, -v25, v55, 1.0
	v_fmac_f32_e32 v59, v75, v59
	v_div_scale_f32 v34, s6, v16, s29, v16
	s_delay_alu instid0(VALU_DEP_4) | instskip(NEXT) | instid1(VALU_DEP_3)
	v_rcp_f32_e32 v66, v47
	v_fmac_f32_e32 v55, v71, v55
	v_div_scale_f32 v26, s2, v14, s29, v14
	v_fma_f32 v79, -v41, v63, 1.0
	v_div_scale_f32 v48, s13, v3, s29, v3
	v_fma_f32 v83, -v49, v67, 1.0
	v_mul_f32_e32 v75, v34, v59
	s_delay_alu instid0(VALU_DEP_4) | instskip(NEXT) | instid1(TRANS32_DEP_1)
	v_fmac_f32_e32 v63, v79, v63
	v_fma_f32 v82, -v47, v66, 1.0
	v_div_scale_f32 v42, s10, v18, s29, v18
	v_fmac_f32_e32 v67, v83, v67
	v_div_scale_f32 v50, s14, v20, s29, v20
	s_delay_alu instid0(VALU_DEP_4) | instskip(SKIP_3) | instid1(VALU_DEP_3)
	v_fmac_f32_e32 v66, v82, v66
	v_div_scale_f32 v45, null, s29, s29, v19
	v_mul_f32_e32 v79, v42, v63
	v_div_scale_f32 v46, s12, v19, s29, v19
	v_rcp_f32_e32 v65, v45
	v_dual_mul_f32 v82, v48, v66 :: v_dual_mul_f32 v83, v50, v67
	v_fma_f32 v91, -v33, v75, v34
	v_mul_f32_e32 v71, v26, v55
	s_delay_alu instid0(VALU_DEP_2) | instskip(NEXT) | instid1(VALU_DEP_4)
	v_fmac_f32_e32 v75, v91, v59
	v_fma_f32 v91, -v47, v82, v48
	s_waitcnt_depctr 0xfff
	v_fma_f32 v81, -v45, v65, 1.0
	v_and_b32_e32 v2, 0xffff0000, v2
	v_fma_f32 v87, -v25, v71, v26
	s_delay_alu instid0(VALU_DEP_3) | instskip(NEXT) | instid1(VALU_DEP_3)
	v_fmac_f32_e32 v65, v81, v65
	v_div_scale_f32 v43, null, s29, s29, v2
	v_div_scale_f32 v44, s11, v2, s29, v2
	s_delay_alu instid0(VALU_DEP_3) | instskip(NEXT) | instid1(VALU_DEP_3)
	v_mul_f32_e32 v81, v46, v65
	v_rcp_f32_e32 v64, v43
	v_fmac_f32_e32 v71, v87, v55
	s_waitcnt_depctr 0xfff
	v_fma_f32 v80, -v43, v64, 1.0
	s_delay_alu instid0(VALU_DEP_1) | instskip(NEXT) | instid1(VALU_DEP_1)
	v_dual_fmac_f32 v64, v80, v64 :: v_dual_and_b32 v1, 0xffff0000, v1
	v_div_scale_f32 v39, null, s29, s29, v1
	v_div_scale_f32 v40, s9, v1, s29, v1
	s_delay_alu instid0(VALU_DEP_3) | instskip(NEXT) | instid1(VALU_DEP_3)
	v_mul_f32_e32 v80, v44, v64
	v_rcp_f32_e32 v62, v39
	s_waitcnt_depctr 0xfff
	v_fma_f32 v78, -v39, v62, 1.0
	s_delay_alu instid0(VALU_DEP_1) | instskip(SKIP_2) | instid1(VALU_DEP_3)
	v_fmac_f32_e32 v62, v78, v62
	v_div_scale_f32 v37, null, s29, s29, v17
	v_div_scale_f32 v38, s8, v17, s29, v17
	v_mul_f32_e32 v78, v40, v62
	s_delay_alu instid0(VALU_DEP_3) | instskip(NEXT) | instid1(VALU_DEP_1)
	v_rcp_f32_e32 v61, v37
	v_fma_f32 v87, -v39, v78, v40
	s_waitcnt_depctr 0xfff
	v_fma_f32 v77, -v37, v61, 1.0
	s_delay_alu instid0(VALU_DEP_1) | instskip(NEXT) | instid1(VALU_DEP_1)
	v_dual_fmac_f32 v61, v77, v61 :: v_dual_and_b32 v8, 0xffff0000, v8
	v_div_scale_f32 v35, null, s29, s29, v8
	v_div_scale_f32 v36, s7, v8, s29, v8
	s_delay_alu instid0(VALU_DEP_3) | instskip(NEXT) | instid1(VALU_DEP_3)
	v_mul_f32_e32 v77, v38, v61
	v_rcp_f32_e32 v60, v35
	s_waitcnt_depctr 0xfff
	v_fma_f32 v76, -v35, v60, 1.0
	s_delay_alu instid0(VALU_DEP_1) | instskip(NEXT) | instid1(VALU_DEP_1)
	v_dual_fmac_f32 v60, v76, v60 :: v_dual_and_b32 v7, 0xffff0000, v7
	v_div_scale_f32 v31, null, s29, s29, v7
	v_div_scale_f32 v32, s5, v7, s29, v7
	s_delay_alu instid0(VALU_DEP_3) | instskip(NEXT) | instid1(VALU_DEP_3)
	v_mul_f32_e32 v76, v36, v60
	v_rcp_f32_e32 v58, v31
	s_waitcnt_depctr 0xfff
	v_fma_f32 v74, -v31, v58, 1.0
	s_delay_alu instid0(VALU_DEP_1) | instskip(SKIP_2) | instid1(VALU_DEP_3)
	v_fmac_f32_e32 v58, v74, v58
	v_div_scale_f32 v29, null, s29, s29, v15
	v_div_scale_f32 v30, s4, v15, s29, v15
	v_mul_f32_e32 v74, v32, v58
	s_delay_alu instid0(VALU_DEP_3) | instskip(NEXT) | instid1(VALU_DEP_1)
	v_rcp_f32_e32 v57, v29
	v_fma_f32 v90, -v31, v74, v32
	s_delay_alu instid0(VALU_DEP_1) | instskip(SKIP_4) | instid1(VALU_DEP_3)
	v_fmac_f32_e32 v74, v90, v58
	s_waitcnt_depctr 0xfff
	v_fma_f32 v73, -v29, v57, 1.0
	v_and_b32_e32 v6, 0xffff0000, v6
	v_fma_f32 v90, -v45, v81, v46
	v_fmac_f32_e32 v57, v73, v57
	s_delay_alu instid0(VALU_DEP_3) | instskip(SKIP_1) | instid1(VALU_DEP_3)
	v_div_scale_f32 v27, null, s29, s29, v6
	v_div_scale_f32 v28, s3, v6, s29, v6
	v_mul_f32_e32 v73, v30, v57
	s_delay_alu instid0(VALU_DEP_3) | instskip(SKIP_1) | instid1(VALU_DEP_2)
	v_rcp_f32_e32 v56, v27
	v_fmac_f32_e32 v81, v90, v65
	v_fma_f32 v89, -v29, v73, v30
	s_delay_alu instid0(VALU_DEP_1) | instskip(SKIP_4) | instid1(VALU_DEP_3)
	v_fmac_f32_e32 v73, v89, v57
	s_waitcnt_depctr 0xfff
	v_fma_f32 v72, -v27, v56, 1.0
	v_and_b32_e32 v5, 0xffff0000, v5
	v_fma_f32 v89, -v43, v80, v44
	v_fmac_f32_e32 v56, v72, v56
	s_delay_alu instid0(VALU_DEP_3) | instskip(SKIP_1) | instid1(VALU_DEP_3)
	v_div_scale_f32 v23, null, s29, s29, v5
	v_div_scale_f32 v24, s1, v5, s29, v5
	v_mul_f32_e32 v72, v28, v56
	s_delay_alu instid0(VALU_DEP_3) | instskip(SKIP_1) | instid1(VALU_DEP_2)
	v_rcp_f32_e32 v54, v23
	v_fmac_f32_e32 v80, v89, v64
	v_fma_f32 v88, -v27, v72, v28
	s_delay_alu instid0(VALU_DEP_1) | instskip(SKIP_4) | instid1(VALU_DEP_2)
	v_fmac_f32_e32 v72, v88, v56
	s_waitcnt_depctr 0xfff
	v_fma_f32 v70, -v23, v54, 1.0
	v_fma_f32 v88, -v41, v79, v42
	v_fmac_f32_e32 v78, v87, v62
	v_dual_fmac_f32 v54, v70, v54 :: v_dual_fmac_f32 v79, v88, v63
	v_div_scale_f32 v21, null, s29, s29, v13
	v_div_scale_f32 v22, vcc_lo, v13, s29, v13
	s_delay_alu instid0(VALU_DEP_3) | instskip(NEXT) | instid1(VALU_DEP_3)
	v_mul_f32_e32 v70, v24, v54
	v_rcp_f32_e32 v53, v21
	s_delay_alu instid0(VALU_DEP_1) | instskip(NEXT) | instid1(VALU_DEP_1)
	v_fma_f32 v86, -v23, v70, v24
	v_fmac_f32_e32 v70, v86, v54
	s_waitcnt_depctr 0xfff
	v_fma_f32 v69, -v21, v53, 1.0
	v_add_nc_u32_e32 v0, s28, v0
	v_fma_f32 v86, -v37, v77, v38
	s_delay_alu instid0(VALU_DEP_3) | instskip(NEXT) | instid1(VALU_DEP_3)
	v_fmac_f32_e32 v53, v69, v53
	v_cmp_le_i32_e64 s0, s24, v0
	s_delay_alu instid0(VALU_DEP_3) | instskip(NEXT) | instid1(VALU_DEP_3)
	v_fmac_f32_e32 v77, v86, v61
	v_mul_f32_e32 v69, v22, v53
	v_div_scale_f32 v52, s15, v4, s29, v4
	s_delay_alu instid0(VALU_DEP_4) | instskip(NEXT) | instid1(VALU_DEP_2)
	s_or_b32 s16, s0, s16
	v_fma_f32 v85, -v21, v69, v22
	s_delay_alu instid0(VALU_DEP_1) | instskip(SKIP_1) | instid1(VALU_DEP_2)
	v_dual_mul_f32 v84, v52, v68 :: v_dual_fmac_f32 v69, v85, v53
	v_fma_f32 v85, -v35, v76, v36
	v_fma_f32 v86, -v51, v84, v52
	s_delay_alu instid0(VALU_DEP_3)
	v_fma_f32 v21, -v21, v69, v22
	v_fma_f32 v22, -v23, v70, v24
	;; [unrolled: 1-line block ×5, first 2 shown]
	v_div_fmas_f32 v21, v21, v53, v69
	s_mov_b32 vcc_lo, s1
	v_fmac_f32_e32 v76, v85, v60
	v_div_fmas_f32 v22, v22, v54, v70
	s_mov_b32 vcc_lo, s2
	v_div_fixup_f32 v13, v21, s29, v13
	v_div_fmas_f32 v23, v23, v55, v71
	s_mov_b32 vcc_lo, s3
	v_fma_f32 v26, -v31, v74, v32
	v_div_fmas_f32 v21, v24, v56, v72
	s_mov_b32 vcc_lo, s4
	v_fma_f32 v27, -v33, v75, v34
	v_div_fixup_f32 v5, v22, s29, v5
	v_div_fmas_f32 v22, v25, v57, v73
	s_mov_b32 vcc_lo, s5
	v_fma_f32 v28, -v35, v76, v36
	v_rndne_f32_e32 v13, v13
	v_div_fixup_f32 v14, v23, s29, v14
	v_div_fmas_f32 v23, v26, v58, v74
	s_mov_b32 vcc_lo, s6
	v_div_fixup_f32 v6, v21, s29, v6
	v_div_fmas_f32 v21, v27, v59, v75
	s_mov_b32 vcc_lo, s7
	v_div_fixup_f32 v15, v22, s29, v15
	v_div_fmas_f32 v22, v28, v60, v76
	v_cmp_nlt_f32_e32 vcc_lo, 0x42fe0000, v13
	v_fma_f32 v29, -v37, v77, v38
	v_rndne_f32_e32 v5, v5
	v_cmp_ngt_f32_e64 s1, 0xc3000000, v13
	v_fma_f32 v30, -v39, v78, v40
	v_cndmask_b32_e32 v24, 0x42fe0000, v13, vcc_lo
	s_mov_b32 vcc_lo, s8
	v_rndne_f32_e32 v14, v14
	v_div_fmas_f32 v13, v29, v61, v77
	v_cmp_nlt_f32_e32 vcc_lo, 0x42fe0000, v5
	v_fmac_f32_e32 v84, v86, v68
	v_div_fixup_f32 v7, v23, s29, v7
	v_cmp_ngt_f32_e64 s2, 0xc3000000, v5
	v_fma_f32 v31, -v41, v79, v42
	v_cndmask_b32_e32 v23, 0x42fe0000, v5, vcc_lo
	s_mov_b32 vcc_lo, s9
	v_div_fixup_f32 v5, v21, s29, v16
	v_div_fmas_f32 v16, v30, v62, v78
	v_cmp_nlt_f32_e32 vcc_lo, 0x42fe0000, v14
	v_rndne_f32_e32 v6, v6
	v_div_fixup_f32 v8, v22, s29, v8
	v_fma_f32 v32, -v43, v80, v44
	v_rndne_f32_e32 v15, v15
	v_cndmask_b32_e32 v21, 0x42fe0000, v14, vcc_lo
	s_mov_b32 vcc_lo, s10
	v_cmp_ngt_f32_e64 s3, 0xc3000000, v14
	v_div_fmas_f32 v22, v31, v63, v79
	v_cmp_nlt_f32_e32 vcc_lo, 0x42fe0000, v6
	v_cndmask_b32_e64 v14, 0xc3000000, v24, s1
	v_cmp_ngt_f32_e64 s1, 0xc3000000, v6
	v_fma_f32 v33, -v45, v81, v46
	v_rndne_f32_e32 v7, v7
	v_cndmask_b32_e32 v24, 0x42fe0000, v6, vcc_lo
	s_mov_b32 vcc_lo, s11
	v_div_fixup_f32 v6, v13, s29, v17
	v_div_fmas_f32 v17, v32, v64, v80
	v_cmp_nlt_f32_e32 vcc_lo, 0x42fe0000, v15
	v_fma_f32 v85, -v49, v83, v50
	v_fmac_f32_e32 v82, v91, v66
	v_cndmask_b32_e64 v13, 0xc3000000, v23, s2
	v_div_fixup_f32 v1, v16, s29, v1
	v_cndmask_b32_e32 v23, 0x42fe0000, v15, vcc_lo
	s_mov_b32 vcc_lo, s12
	v_fmac_f32_e32 v83, v85, v67
	v_div_fmas_f32 v16, v33, v65, v81
	v_cmp_nlt_f32_e32 vcc_lo, 0x42fe0000, v7
	v_fma_f32 v34, -v47, v82, v48
	v_rndne_f32_e32 v5, v5
	v_cmp_ngt_f32_e64 s2, 0xc3000000, v15
	v_cndmask_b32_e64 v15, 0xc3000000, v21, s3
	v_cndmask_b32_e32 v21, 0x42fe0000, v7, vcc_lo
	s_mov_b32 vcc_lo, s13
	v_cmp_ngt_f32_e64 s3, 0xc3000000, v7
	v_div_fixup_f32 v7, v22, s29, v18
	v_div_fmas_f32 v22, v34, v66, v82
	v_cmp_nlt_f32_e32 vcc_lo, 0x42fe0000, v5
	v_fma_f32 v35, -v49, v83, v50
	v_rndne_f32_e32 v8, v8
	v_cndmask_b32_e64 v18, 0xc3000000, v24, s1
	v_div_fixup_f32 v2, v17, s29, v2
	v_cndmask_b32_e32 v24, 0x42fe0000, v5, vcc_lo
	s_mov_b32 vcc_lo, s14
	v_fma_f32 v36, -v51, v84, v52
	v_div_fmas_f32 v17, v35, v67, v83
	v_cmp_nlt_f32_e32 vcc_lo, 0x42fe0000, v8
	v_rndne_f32_e32 v6, v6
	v_cmp_ngt_f32_e64 s1, 0xc3000000, v5
	v_cndmask_b32_e64 v5, 0xc3000000, v23, s2
	v_rndne_f32_e32 v1, v1
	v_cndmask_b32_e32 v23, 0x42fe0000, v8, vcc_lo
	s_mov_b32 vcc_lo, s15
	v_cmp_ngt_f32_e64 s2, 0xc3000000, v8
	v_div_fixup_f32 v8, v16, s29, v19
	v_div_fmas_f32 v19, v36, v68, v84
	v_cmp_nlt_f32_e32 vcc_lo, 0x42fe0000, v6
	v_cndmask_b32_e64 v16, 0xc3000000, v21, s3
	v_rndne_f32_e32 v7, v7
	v_cvt_i32_f32_e32 v14, v14
	v_cvt_i32_f32_e32 v13, v13
	v_cndmask_b32_e32 v21, 0x42fe0000, v6, vcc_lo
	v_cmp_ngt_f32_e32 vcc_lo, 0xc3000000, v6
	v_cndmask_b32_e64 v6, 0xc3000000, v24, s1
	v_cmp_nlt_f32_e64 s1, 0x42fe0000, v1
	v_div_fixup_f32 v3, v22, s29, v3
	v_rndne_f32_e32 v2, v2
	v_and_b32_e32 v14, 0xff, v14
	v_lshlrev_b16 v13, 8, v13
	v_cndmask_b32_e64 v22, 0x42fe0000, v1, s1
	v_cmp_ngt_f32_e64 s1, 0xc3000000, v1
	v_div_fixup_f32 v1, v17, s29, v20
	v_cndmask_b32_e64 v17, 0xc3000000, v23, s2
	v_cmp_nlt_f32_e64 s2, 0x42fe0000, v7
	v_rndne_f32_e32 v8, v8
	v_cvt_i32_f32_e32 v15, v15
	v_cvt_i32_f32_e32 v18, v18
	v_div_fixup_f32 v4, v19, s29, v4
	v_cndmask_b32_e64 v20, 0x42fe0000, v7, s2
	v_cmp_ngt_f32_e64 s2, 0xc3000000, v7
	v_cndmask_b32_e32 v7, 0xc3000000, v21, vcc_lo
	v_cmp_nlt_f32_e32 vcc_lo, 0x42fe0000, v2
	v_rndne_f32_e32 v3, v3
	v_and_b32_e32 v15, 0xff, v15
	v_lshlrev_b16 v18, 8, v18
	v_rndne_f32_e32 v1, v1
	v_cndmask_b32_e32 v19, 0x42fe0000, v2, vcc_lo
	v_cmp_ngt_f32_e32 vcc_lo, 0xc3000000, v2
	v_or_b32_e32 v2, v14, v13
	v_cndmask_b32_e64 v13, 0xc3000000, v22, s1
	v_cmp_nlt_f32_e64 s1, 0x42fe0000, v8
	v_cvt_i32_f32_e32 v14, v17
	v_rndne_f32_e32 v4, v4
	v_cvt_i32_f32_e32 v5, v5
	v_cvt_i32_f32_e32 v16, v16
	v_cndmask_b32_e64 v17, 0x42fe0000, v8, s1
	v_cmp_ngt_f32_e64 s1, 0xc3000000, v8
	v_cndmask_b32_e64 v8, 0xc3000000, v20, s2
	v_cmp_nlt_f32_e64 s2, 0x42fe0000, v3
	v_cvt_i32_f32_e32 v6, v6
	v_and_b32_e32 v5, 0xff, v5
	v_lshlrev_b16 v16, 8, v16
	v_lshlrev_b16 v14, 8, v14
	v_cndmask_b32_e64 v20, 0x42fe0000, v3, s2
	v_cmp_ngt_f32_e64 s2, 0xc3000000, v3
	v_or_b32_e32 v3, v15, v18
	v_cndmask_b32_e32 v15, 0xc3000000, v19, vcc_lo
	v_cmp_nlt_f32_e32 vcc_lo, 0x42fe0000, v1
	v_and_b32_e32 v6, 0xff, v6
	v_cvt_i32_f32_e32 v7, v7
	v_and_b32_e32 v2, 0xffff, v2
	v_cvt_i32_f32_e32 v13, v13
	v_cndmask_b32_e32 v18, 0x42fe0000, v1, vcc_lo
	v_cmp_ngt_f32_e32 vcc_lo, 0xc3000000, v1
	v_cndmask_b32_e64 v1, 0xc3000000, v17, s1
	v_cmp_nlt_f32_e64 s1, 0x42fe0000, v4
	v_cvt_i32_f32_e32 v8, v8
	v_lshlrev_b32_e32 v3, 16, v3
	v_cvt_i32_f32_e32 v15, v15
	v_or_b32_e32 v6, v6, v14
	v_cndmask_b32_e64 v17, 0x42fe0000, v4, s1
	v_cmp_ngt_f32_e64 s1, 0xc3000000, v4
	v_or_b32_e32 v4, v5, v16
	v_cndmask_b32_e64 v5, 0xc3000000, v20, s2
	v_cndmask_b32_e32 v16, 0xc3000000, v18, vcc_lo
	v_and_b32_e32 v7, 0xff, v7
	v_cndmask_b32_e64 v14, 0xc3000000, v17, s1
	v_lshlrev_b16 v13, 8, v13
	v_cvt_i32_f32_e32 v18, v1
	v_and_b32_e32 v8, 0xff, v8
	v_and_b32_e32 v4, 0xffff, v4
	v_cvt_i32_f32_e32 v5, v5
	v_or_b32_e32 v1, v2, v3
	v_lshlrev_b16 v2, 8, v15
	v_cvt_i32_f32_e32 v3, v16
	v_lshlrev_b32_e32 v6, 16, v6
	v_cvt_i32_f32_e32 v14, v14
	v_or_b32_e32 v7, v7, v13
	v_and_b32_e32 v13, 0xff, v18
	v_lshlrev_b16 v5, 8, v5
	v_or_b32_e32 v8, v8, v2
	v_and_b32_e32 v3, 0xff, v3
	v_or_b32_e32 v2, v4, v6
	v_lshlrev_b16 v4, 8, v14
	v_or_b32_e32 v5, v13, v5
	v_and_b32_e32 v7, 0xffff, v7
	v_lshlrev_b32_e32 v6, 16, v8
	s_delay_alu instid0(VALU_DEP_4) | instskip(NEXT) | instid1(VALU_DEP_4)
	v_or_b32_e32 v4, v3, v4
	v_and_b32_e32 v5, 0xffff, v5
	s_delay_alu instid0(VALU_DEP_3) | instskip(NEXT) | instid1(VALU_DEP_3)
	v_or_b32_e32 v3, v7, v6
	v_lshlrev_b32_e32 v4, 16, v4
	s_delay_alu instid0(VALU_DEP_1)
	v_or_b32_e32 v4, v5, v4
	global_store_b128 v[9:10], v[1:4], off
	v_add_co_u32 v9, vcc_lo, v9, s18
	v_add_co_ci_u32_e32 v10, vcc_lo, 0, v10, vcc_lo
	s_and_not1_b32 exec_lo, exec_lo, s16
	s_cbranch_execnz .LBB4_24
.LBB4_25:
	s_nop 0
	s_sendmsg sendmsg(MSG_DEALLOC_VGPRS)
	s_endpgm
	.section	.rodata,"a",@progbits
	.p2align	6, 0x0
	.amdhsa_kernel _ZN4vllm31static_scaled_int8_quant_kernelIN3c108BFloat16EfEEvPKT_PaPKT0_i
		.amdhsa_group_segment_fixed_size 0
		.amdhsa_private_segment_fixed_size 0
		.amdhsa_kernarg_size 288
		.amdhsa_user_sgpr_count 15
		.amdhsa_user_sgpr_dispatch_ptr 0
		.amdhsa_user_sgpr_queue_ptr 0
		.amdhsa_user_sgpr_kernarg_segment_ptr 1
		.amdhsa_user_sgpr_dispatch_id 0
		.amdhsa_user_sgpr_private_segment_size 0
		.amdhsa_wavefront_size32 1
		.amdhsa_uses_dynamic_stack 0
		.amdhsa_enable_private_segment 0
		.amdhsa_system_sgpr_workgroup_id_x 1
		.amdhsa_system_sgpr_workgroup_id_y 0
		.amdhsa_system_sgpr_workgroup_id_z 0
		.amdhsa_system_sgpr_workgroup_info 0
		.amdhsa_system_vgpr_workitem_id 0
		.amdhsa_next_free_vgpr 94
		.amdhsa_next_free_sgpr 40
		.amdhsa_reserve_vcc 1
		.amdhsa_float_round_mode_32 0
		.amdhsa_float_round_mode_16_64 0
		.amdhsa_float_denorm_mode_32 3
		.amdhsa_float_denorm_mode_16_64 3
		.amdhsa_dx10_clamp 1
		.amdhsa_ieee_mode 1
		.amdhsa_fp16_overflow 0
		.amdhsa_workgroup_processor_mode 1
		.amdhsa_memory_ordered 1
		.amdhsa_forward_progress 0
		.amdhsa_shared_vgpr_count 0
		.amdhsa_exception_fp_ieee_invalid_op 0
		.amdhsa_exception_fp_denorm_src 0
		.amdhsa_exception_fp_ieee_div_zero 0
		.amdhsa_exception_fp_ieee_overflow 0
		.amdhsa_exception_fp_ieee_underflow 0
		.amdhsa_exception_fp_ieee_inexact 0
		.amdhsa_exception_int_div_zero 0
	.end_amdhsa_kernel
	.section	.text._ZN4vllm31static_scaled_int8_quant_kernelIN3c108BFloat16EfEEvPKT_PaPKT0_i,"axG",@progbits,_ZN4vllm31static_scaled_int8_quant_kernelIN3c108BFloat16EfEEvPKT_PaPKT0_i,comdat
.Lfunc_end4:
	.size	_ZN4vllm31static_scaled_int8_quant_kernelIN3c108BFloat16EfEEvPKT_PaPKT0_i, .Lfunc_end4-_ZN4vllm31static_scaled_int8_quant_kernelIN3c108BFloat16EfEEvPKT_PaPKT0_i
                                        ; -- End function
	.section	.AMDGPU.csdata,"",@progbits
; Kernel info:
; codeLenInByte = 7628
; NumSgprs: 42
; NumVgprs: 94
; ScratchSize: 0
; MemoryBound: 0
; FloatMode: 240
; IeeeMode: 1
; LDSByteSize: 0 bytes/workgroup (compile time only)
; SGPRBlocks: 5
; VGPRBlocks: 11
; NumSGPRsForWavesPerEU: 42
; NumVGPRsForWavesPerEU: 94
; Occupancy: 16
; WaveLimiterHint : 0
; COMPUTE_PGM_RSRC2:SCRATCH_EN: 0
; COMPUTE_PGM_RSRC2:USER_SGPR: 15
; COMPUTE_PGM_RSRC2:TRAP_HANDLER: 0
; COMPUTE_PGM_RSRC2:TGID_X_EN: 1
; COMPUTE_PGM_RSRC2:TGID_Y_EN: 0
; COMPUTE_PGM_RSRC2:TGID_Z_EN: 0
; COMPUTE_PGM_RSRC2:TIDIG_COMP_CNT: 0
	.section	.text._ZN4vllm35static_scaled_int8_azp_quant_kernelIN3c108BFloat16EfiEEvPKT_PaPKT0_PKT1_i,"axG",@progbits,_ZN4vllm35static_scaled_int8_azp_quant_kernelIN3c108BFloat16EfiEEvPKT_PaPKT0_PKT1_i,comdat
	.protected	_ZN4vllm35static_scaled_int8_azp_quant_kernelIN3c108BFloat16EfiEEvPKT_PaPKT0_PKT1_i ; -- Begin function _ZN4vllm35static_scaled_int8_azp_quant_kernelIN3c108BFloat16EfiEEvPKT_PaPKT0_PKT1_i
	.globl	_ZN4vllm35static_scaled_int8_azp_quant_kernelIN3c108BFloat16EfiEEvPKT_PaPKT0_PKT1_i
	.p2align	8
	.type	_ZN4vllm35static_scaled_int8_azp_quant_kernelIN3c108BFloat16EfiEEvPKT_PaPKT0_PKT1_i,@function
_ZN4vllm35static_scaled_int8_azp_quant_kernelIN3c108BFloat16EfiEEvPKT_PaPKT0_PKT1_i: ; @_ZN4vllm35static_scaled_int8_azp_quant_kernelIN3c108BFloat16EfiEEvPKT_PaPKT0_PKT1_i
; %bb.0:
	s_load_b256 s[36:43], s[0:1], 0x0
	s_waitcnt lgkmcnt(0)
	s_load_b32 s2, s[40:41], 0x0
	s_clause 0x1
	s_load_b32 s50, s[0:1], 0x20
	s_load_b32 s0, s[0:1], 0x34
	;; [unrolled: 1-line block ×3, first 2 shown]
	s_mov_b32 s1, 0
	s_waitcnt lgkmcnt(0)
	v_div_scale_f32 v1, null, s2, s2, 1.0
	v_div_scale_f32 v4, vcc_lo, 1.0, s2, 1.0
	s_ashr_i32 s3, s50, 31
	s_delay_alu instid0(VALU_DEP_2)
	v_rcp_f32_e32 v2, v1
	s_mul_hi_u32 s4, s50, s15
	s_mul_i32 s3, s3, s15
	s_mul_i32 s40, s50, s15
	s_add_i32 s41, s4, s3
	s_and_b32 s31, s0, 0xffff
	s_lshl_b64 s[34:35], s[40:41], 1
	s_delay_alu instid0(SALU_CYCLE_1)
	s_add_u32 s48, s36, s34
	s_addc_u32 s49, s37, s35
	s_waitcnt_depctr 0xfff
	v_fma_f32 v3, -v1, v2, 1.0
	s_add_u32 s42, s38, s40
	s_addc_u32 s43, s39, s41
	s_and_b32 s0, s48, 31
	s_delay_alu instid0(SALU_CYCLE_1) | instskip(SKIP_3) | instid1(SALU_CYCLE_1)
	s_cmp_lg_u64 s[0:1], 0
	v_fmac_f32_e32 v2, v3, v2
	s_cselect_b32 s0, -1, 0
	s_and_b32 s1, s50, 15
	s_cmp_lg_u32 s1, 0
	s_delay_alu instid0(VALU_DEP_1) | instskip(SKIP_1) | instid1(SALU_CYCLE_1)
	v_mul_f32_e32 v3, v4, v2
	s_cselect_b32 s1, -1, 0
	s_or_b32 s0, s1, s0
	s_delay_alu instid0(VALU_DEP_1) | instskip(NEXT) | instid1(VALU_DEP_1)
	v_fma_f32 v5, -v1, v3, v4
	v_fmac_f32_e32 v3, v5, v2
	s_delay_alu instid0(VALU_DEP_1) | instskip(NEXT) | instid1(VALU_DEP_1)
	v_fma_f32 v1, -v1, v3, v4
	v_div_fmas_f32 v1, v1, v2, v3
	s_and_b32 vcc_lo, exec_lo, s0
	s_mov_b32 s0, -1
	s_delay_alu instid0(VALU_DEP_1)
	v_div_fixup_f32 v14, v1, s2, 1.0
	s_cbranch_vccz .LBB5_98
; %bb.1:
	s_sub_i32 s0, 0, s48
	s_mov_b32 s1, exec_lo
	s_bfe_u32 s0, s0, 0x40001
	s_delay_alu instid0(SALU_CYCLE_1) | instskip(NEXT) | instid1(SALU_CYCLE_1)
	s_min_i32 s44, s0, s50
	v_cmpx_gt_i32_e64 s44, v0
	s_cbranch_execz .LBB5_13
; %bb.2:
	v_cvt_f32_u32_e32 v1, s31
	s_sub_i32 s0, 0, s31
	v_add_nc_u32_e32 v3, s31, v0
	s_cmp_eq_u32 s31, 1
	s_mov_b32 s2, 0
	v_rcp_iflag_f32_e32 v1, v1
	s_mov_b32 s3, -1
	v_cmp_gt_i32_e32 vcc_lo, s44, v3
	v_max_i32_e32 v4, s44, v3
	s_waitcnt_depctr 0xfff
	v_mul_f32_e32 v1, 0x4f7ffffe, v1
	s_delay_alu instid0(VALU_DEP_1) | instskip(NEXT) | instid1(VALU_DEP_1)
	v_cvt_u32_f32_e32 v1, v1
	v_mul_lo_u32 v2, s0, v1
	v_add_co_ci_u32_e64 v3, s0, s31, v0, vcc_lo
	s_delay_alu instid0(VALU_DEP_1) | instskip(NEXT) | instid1(VALU_DEP_3)
	v_sub_nc_u32_e32 v3, v4, v3
	v_mul_hi_u32 v2, v1, v2
	s_delay_alu instid0(VALU_DEP_1) | instskip(NEXT) | instid1(VALU_DEP_1)
	v_add_nc_u32_e32 v1, v1, v2
	v_mul_hi_u32 v1, v3, v1
	s_delay_alu instid0(VALU_DEP_1) | instskip(NEXT) | instid1(VALU_DEP_1)
	v_mul_lo_u32 v2, v1, s31
	v_sub_nc_u32_e32 v2, v3, v2
	v_add_nc_u32_e32 v3, 1, v1
	s_delay_alu instid0(VALU_DEP_2) | instskip(SKIP_1) | instid1(VALU_DEP_1)
	v_subrev_nc_u32_e32 v4, s31, v2
	v_cmp_le_u32_e64 s0, s31, v2
	v_cndmask_b32_e64 v1, v1, v3, s0
	s_delay_alu instid0(VALU_DEP_3) | instskip(NEXT) | instid1(VALU_DEP_2)
	v_cndmask_b32_e64 v2, v2, v4, s0
	v_add_nc_u32_e32 v3, 1, v1
	s_delay_alu instid0(VALU_DEP_2) | instskip(NEXT) | instid1(VALU_DEP_1)
	v_cmp_le_u32_e64 s0, s31, v2
	v_cndmask_b32_e64 v1, v1, v3, s0
	s_cselect_b32 s0, -1, 0
	s_delay_alu instid0(VALU_DEP_1) | instskip(SKIP_1) | instid1(VALU_DEP_2)
	v_add_co_ci_u32_e32 v3, vcc_lo, 1, v1, vcc_lo
	v_mov_b32_e32 v1, v0
	v_cmp_lt_u32_e32 vcc_lo, 1, v3
	s_and_b32 s4, vcc_lo, s0
	s_delay_alu instid0(SALU_CYCLE_1)
	s_and_saveexec_b32 s0, s4
	s_cbranch_execz .LBB5_6
; %bb.3:
	v_dual_mov_b32 v1, v0 :: v_dual_and_b32 v4, -2, v3
	v_mov_b32_e32 v2, 0
	s_mov_b32 s3, s33
	s_movk_i32 s4, 0xff80
	s_delay_alu instid0(VALU_DEP_2)
	v_mov_b32_e32 v5, v4
.LBB5_4:                                ; =>This Inner Loop Header: Depth=1
	s_delay_alu instid0(VALU_DEP_1) | instskip(NEXT) | instid1(VALU_DEP_2)
	v_lshlrev_b64 v[6:7], 1, v[1:2]
	v_add_nc_u32_e32 v5, -2, v5
	s_delay_alu instid0(VALU_DEP_2) | instskip(NEXT) | instid1(VALU_DEP_3)
	v_add_co_u32 v6, vcc_lo, s48, v6
	v_add_co_ci_u32_e32 v7, vcc_lo, s49, v7, vcc_lo
	global_load_b32 v6, v[6:7], off
	s_waitcnt vmcnt(0)
	v_and_b32_e32 v7, 0xffff0000, v6
	s_delay_alu instid0(VALU_DEP_1) | instskip(NEXT) | instid1(VALU_DEP_1)
	v_dual_mul_f32 v7, v14, v7 :: v_dual_lshlrev_b32 v6, 16, v6
	v_rndne_f32_e32 v7, v7
	s_delay_alu instid0(VALU_DEP_1) | instskip(SKIP_1) | instid1(VALU_DEP_1)
	v_cmp_nge_f32_e32 vcc_lo, 0xcf000000, v7
	v_cndmask_b32_e32 v8, 0xcf000000, v7, vcc_lo
	v_cvt_i32_f32_e32 v8, v8
	v_mul_f32_e32 v6, v14, v6
	s_delay_alu instid0(VALU_DEP_1) | instskip(NEXT) | instid1(VALU_DEP_1)
	v_rndne_f32_e32 v6, v6
	v_cmp_nge_f32_e32 vcc_lo, 0xcf000000, v6
	v_cndmask_b32_e32 v9, 0xcf000000, v6, vcc_lo
	v_cmp_nle_f32_e32 vcc_lo, 0x4f000000, v7
	s_delay_alu instid0(VALU_DEP_2) | instskip(SKIP_2) | instid1(VALU_DEP_2)
	v_cvt_i32_f32_e32 v9, v9
	v_cndmask_b32_e32 v7, 0x7fffffff, v8, vcc_lo
	v_cmp_nle_f32_e32 vcc_lo, 0x4f000000, v6
	v_add_nc_u32_e32 v7, s3, v7
	s_delay_alu instid0(VALU_DEP_4) | instskip(SKIP_1) | instid1(VALU_DEP_3)
	v_cndmask_b32_e32 v6, 0x7fffffff, v9, vcc_lo
	v_cmp_eq_u32_e32 vcc_lo, 0, v5
	v_med3_i32 v7, v7, s4, 0x7f
	s_delay_alu instid0(VALU_DEP_3) | instskip(SKIP_1) | instid1(VALU_DEP_2)
	v_add_nc_u32_e32 v6, s33, v6
	s_or_b32 s2, vcc_lo, s2
	v_lshlrev_b16 v7, 8, v7
	s_delay_alu instid0(VALU_DEP_2) | instskip(NEXT) | instid1(VALU_DEP_1)
	v_med3_i32 v6, v6, s4, 0x7f
	v_and_b32_e32 v6, 0xff, v6
	s_delay_alu instid0(VALU_DEP_1)
	v_or_b32_e32 v6, v6, v7
	global_store_b16 v1, v6, s[42:43]
	v_add_nc_u32_e32 v1, 2, v1
	s_and_not1_b32 exec_lo, exec_lo, s2
	s_cbranch_execnz .LBB5_4
; %bb.5:
	s_or_b32 exec_lo, exec_lo, s2
	v_cmp_ne_u32_e32 vcc_lo, v3, v4
	v_add_nc_u32_e32 v1, v0, v4
	s_or_not1_b32 s3, vcc_lo, exec_lo
.LBB5_6:
	s_or_b32 exec_lo, exec_lo, s0
	s_delay_alu instid0(SALU_CYCLE_1)
	s_and_b32 exec_lo, exec_lo, s3
	s_cbranch_execz .LBB5_13
; %bb.7:
	v_mov_b32_e32 v2, 0
	s_add_u32 s0, s38, s40
	s_addc_u32 s2, s39, s41
	v_add_co_u32 v4, s0, s0, v1
	s_delay_alu instid0(VALU_DEP_2) | instskip(SKIP_4) | instid1(VALU_DEP_2)
	v_lshlrev_b64 v[2:3], 1, v[1:2]
	v_add_co_ci_u32_e64 v5, null, s2, 0, s0
	s_add_u32 s0, s36, s34
	s_addc_u32 s2, s37, s35
	s_mov_b32 s4, 0
	v_add_co_u32 v2, vcc_lo, s0, v2
	v_add_co_ci_u32_e32 v3, vcc_lo, s2, v3, vcc_lo
	s_lshl_b32 s5, s31, 1
	s_mov_b64 s[2:3], 0
	s_movk_i32 s6, 0xff80
	s_set_inst_prefetch_distance 0x1
	s_branch .LBB5_10
	.p2align	6
.LBB5_8:                                ;   in Loop: Header=BB5_10 Depth=1
	s_or_b32 exec_lo, exec_lo, s7
.LBB5_9:                                ;   in Loop: Header=BB5_10 Depth=1
	s_delay_alu instid0(SALU_CYCLE_1)
	s_or_b32 exec_lo, exec_lo, s0
	v_add_co_u32 v7, vcc_lo, v4, s2
	s_add_u32 s2, s2, s31
	v_add_nc_u32_e32 v6, s33, v6
	v_add_nc_u32_e32 v9, s2, v1
	v_add_co_ci_u32_e32 v8, vcc_lo, s3, v5, vcc_lo
	v_add_co_u32 v2, s0, v2, s5
	s_delay_alu instid0(VALU_DEP_3)
	v_cmp_le_i32_e32 vcc_lo, s44, v9
	v_med3_i32 v6, v6, s6, 0x7f
	v_add_co_ci_u32_e64 v3, s0, 0, v3, s0
	s_addc_u32 s3, s3, 0
	s_or_b32 s4, vcc_lo, s4
	global_store_b8 v[7:8], v6, off
	s_and_not1_b32 exec_lo, exec_lo, s4
	s_cbranch_execz .LBB5_13
.LBB5_10:                               ; =>This Inner Loop Header: Depth=1
	global_load_u16 v6, v[2:3], off
	s_mov_b32 s0, exec_lo
	s_waitcnt vmcnt(0)
	v_lshlrev_b32_e32 v6, 16, v6
	s_delay_alu instid0(VALU_DEP_1) | instskip(NEXT) | instid1(VALU_DEP_1)
	v_mul_f32_e32 v6, v14, v6
	v_rndne_f32_e32 v7, v6
	v_bfrev_b32_e32 v6, -2
	s_delay_alu instid0(VALU_DEP_2)
	v_cmpx_nle_f32_e32 0x4f000000, v7
	s_cbranch_execz .LBB5_9
; %bb.11:                               ;   in Loop: Header=BB5_10 Depth=1
	v_bfrev_b32_e32 v6, 1
	s_mov_b32 s7, exec_lo
	v_cmpx_nge_f32_e32 0xcf000000, v7
	s_cbranch_execz .LBB5_8
; %bb.12:                               ;   in Loop: Header=BB5_10 Depth=1
	v_cvt_i32_f32_e32 v6, v7
	s_branch .LBB5_8
.LBB5_13:
	s_set_inst_prefetch_distance 0x2
	s_or_b32 exec_lo, exec_lo, s1
	s_ashr_i32 s45, s44, 31
	s_mov_b32 s57, exec_lo
	s_lshl_b64 s[46:47], s[44:45], 1
	s_delay_alu instid0(SALU_CYCLE_1) | instskip(SKIP_4) | instid1(SALU_CYCLE_1)
	s_add_u32 s52, s48, s46
	s_addc_u32 s53, s49, s47
	s_add_u32 s54, s42, s44
	s_addc_u32 s55, s43, s45
	s_sub_i32 s51, s50, s44
	s_ashr_i32 s0, s51, 31
	s_delay_alu instid0(SALU_CYCLE_1) | instskip(NEXT) | instid1(SALU_CYCLE_1)
	s_lshr_b32 s0, s0, 28
	s_add_i32 s0, s51, s0
	s_delay_alu instid0(SALU_CYCLE_1) | instskip(NEXT) | instid1(SALU_CYCLE_1)
	s_ashr_i32 s56, s0, 4
	v_cmpx_gt_i32_e64 s56, v0
	s_cbranch_execz .LBB5_85
; %bb.14:
	v_cvt_f32_u32_e32 v1, s31
	s_sub_i32 s0, 0, s31
	v_add_nc_u32_e32 v3, s31, v0
	s_cmp_eq_u32 s31, 1
	v_mov_b32_e32 v9, v0
	v_rcp_iflag_f32_e32 v1, v1
	s_mov_b32 s59, 0
	v_cmp_gt_i32_e32 vcc_lo, s56, v3
	v_max_i32_e32 v4, s56, v3
	s_waitcnt_depctr 0xfff
	v_mul_f32_e32 v1, 0x4f7ffffe, v1
	s_delay_alu instid0(VALU_DEP_1) | instskip(NEXT) | instid1(VALU_DEP_1)
	v_cvt_u32_f32_e32 v1, v1
	v_mul_lo_u32 v2, s0, v1
	v_add_co_ci_u32_e64 v3, s0, s31, v0, vcc_lo
	s_delay_alu instid0(VALU_DEP_1) | instskip(NEXT) | instid1(VALU_DEP_3)
	v_sub_nc_u32_e32 v3, v4, v3
	v_mul_hi_u32 v2, v1, v2
	s_delay_alu instid0(VALU_DEP_1) | instskip(NEXT) | instid1(VALU_DEP_1)
	v_add_nc_u32_e32 v1, v1, v2
	v_mul_hi_u32 v1, v3, v1
	s_delay_alu instid0(VALU_DEP_1) | instskip(NEXT) | instid1(VALU_DEP_1)
	v_mul_lo_u32 v2, v1, s31
	v_sub_nc_u32_e32 v2, v3, v2
	v_add_nc_u32_e32 v3, 1, v1
	s_delay_alu instid0(VALU_DEP_2) | instskip(SKIP_1) | instid1(VALU_DEP_1)
	v_subrev_nc_u32_e32 v4, s31, v2
	v_cmp_le_u32_e64 s0, s31, v2
	v_cndmask_b32_e64 v1, v1, v3, s0
	s_delay_alu instid0(VALU_DEP_3) | instskip(NEXT) | instid1(VALU_DEP_2)
	v_cndmask_b32_e64 v2, v2, v4, s0
	v_add_nc_u32_e32 v3, 1, v1
	s_delay_alu instid0(VALU_DEP_2) | instskip(NEXT) | instid1(VALU_DEP_1)
	v_cmp_le_u32_e64 s0, s31, v2
	v_cndmask_b32_e64 v1, v1, v3, s0
	s_cselect_b32 s0, -1, 0
	s_delay_alu instid0(VALU_DEP_1) | instskip(NEXT) | instid1(VALU_DEP_1)
	v_add_co_ci_u32_e32 v5, vcc_lo, 1, v1, vcc_lo
	v_cmp_lt_u32_e32 vcc_lo, 1, v5
	s_and_b32 s1, vcc_lo, s0
	s_mov_b32 s0, -1
	s_and_saveexec_b32 s58, s1
	s_cbranch_execz .LBB5_18
; %bb.15:
	v_dual_mov_b32 v2, 0 :: v_dual_add_nc_u32 v1, 1, v0
	v_and_b32_e32 v6, -2, v5
	s_mov_b32 s60, s33
	s_movk_i32 s61, 0xff80
	s_delay_alu instid0(VALU_DEP_2) | instskip(NEXT) | instid1(VALU_DEP_2)
	v_dual_mov_b32 v4, v1 :: v_dual_mov_b32 v3, v0
	v_mov_b32_e32 v7, v6
.LBB5_16:                               ; =>This Inner Loop Header: Depth=1
	s_delay_alu instid0(VALU_DEP_2) | instskip(NEXT) | instid1(VALU_DEP_2)
	v_dual_mov_b32 v1, v3 :: v_dual_mov_b32 v8, v4
	v_add_nc_u32_e32 v7, -2, v7
	v_dual_mov_b32 v9, v2 :: v_dual_add_nc_u32 v4, 2, v4
	s_delay_alu instid0(VALU_DEP_3) | instskip(SKIP_1) | instid1(VALU_DEP_4)
	v_lshlrev_b64 v[10:11], 5, v[1:2]
	v_lshlrev_b64 v[15:16], 4, v[1:2]
	v_cmp_eq_u32_e32 vcc_lo, 0, v7
	s_delay_alu instid0(VALU_DEP_4) | instskip(SKIP_4) | instid1(VALU_DEP_4)
	v_lshlrev_b64 v[12:13], 5, v[8:9]
	v_lshlrev_b64 v[8:9], 4, v[8:9]
	s_or_b32 s59, vcc_lo, s59
	v_add_co_u32 v23, vcc_lo, s52, v10
	v_add_co_ci_u32_e32 v24, vcc_lo, s53, v11, vcc_lo
	v_add_co_u32 v12, vcc_lo, s52, v12
	v_add_co_ci_u32_e32 v13, vcc_lo, s53, v13, vcc_lo
	v_add_co_u32 v27, vcc_lo, s54, v15
	v_add_co_ci_u32_e32 v28, vcc_lo, s55, v16, vcc_lo
	v_add_co_u32 v29, vcc_lo, s54, v8
	v_add_co_ci_u32_e32 v30, vcc_lo, s55, v9, vcc_lo
	s_clause 0x3
	global_load_b128 v[8:11], v[23:24], off
	global_load_b128 v[15:18], v[12:13], off
	global_load_b128 v[19:22], v[12:13], off offset:16
	global_load_b128 v[23:26], v[23:24], off offset:16
	s_waitcnt vmcnt(3)
	v_lshlrev_b32_e32 v32, 16, v10
	v_and_b32_e32 v10, 0xffff0000, v10
	v_lshlrev_b32_e32 v1, 16, v8
	s_waitcnt vmcnt(0)
	v_lshlrev_b32_e32 v40, 16, v25
	v_lshlrev_b32_e32 v37, 16, v19
	v_lshlrev_b32_e32 v42, 16, v26
	v_mul_f32_e32 v10, v14, v10
	v_dual_mul_f32 v1, v14, v1 :: v_dual_lshlrev_b32 v12, 16, v15
	v_mul_f32_e32 v40, v14, v40
	v_dual_mul_f32 v37, v14, v37 :: v_dual_lshlrev_b32 v36, 16, v23
	s_delay_alu instid0(VALU_DEP_3) | instskip(NEXT) | instid1(VALU_DEP_4)
	v_dual_mul_f32 v12, v14, v12 :: v_dual_lshlrev_b32 v33, 16, v17
	v_rndne_f32_e32 v1, v1
	s_delay_alu instid0(VALU_DEP_3) | instskip(NEXT) | instid1(VALU_DEP_3)
	v_mul_f32_e32 v36, v14, v36
	v_dual_mul_f32 v33, v14, v33 :: v_dual_lshlrev_b32 v34, 16, v11
	v_lshlrev_b32_e32 v31, 16, v16
	v_rndne_f32_e32 v12, v12
	v_cmp_nge_f32_e32 vcc_lo, 0xcf000000, v1
	s_delay_alu instid0(VALU_DEP_4) | instskip(NEXT) | instid1(VALU_DEP_4)
	v_mul_f32_e32 v34, v14, v34
	v_dual_mul_f32 v31, v14, v31 :: v_dual_and_b32 v16, 0xffff0000, v16
	v_and_b32_e32 v13, 0xffff0000, v15
	v_dual_cndmask_b32 v44, 0xcf000000, v1 :: v_dual_lshlrev_b32 v43, 16, v22
	s_delay_alu instid0(VALU_DEP_3) | instskip(NEXT) | instid1(VALU_DEP_3)
	v_mul_f32_e32 v16, v14, v16
	v_dual_mul_f32 v13, v14, v13 :: v_dual_and_b32 v8, 0xffff0000, v8
	v_add_nc_u32_e32 v3, 2, v3
	v_cmp_nge_f32_e32 vcc_lo, 0xcf000000, v12
	v_dual_mul_f32 v32, v14, v32 :: v_dual_lshlrev_b32 v15, 16, v9
	s_delay_alu instid0(VALU_DEP_4) | instskip(SKIP_2) | instid1(VALU_DEP_4)
	v_mul_f32_e32 v8, v14, v8
	v_rndne_f32_e32 v13, v13
	v_cndmask_b32_e32 v45, 0xcf000000, v12, vcc_lo
	v_mul_f32_e32 v15, v14, v15
	v_and_b32_e32 v25, 0xffff0000, v25
	v_rndne_f32_e32 v8, v8
	v_rndne_f32_e32 v31, v31
	v_rndne_f32_e32 v16, v16
	v_rndne_f32_e32 v15, v15
	v_rndne_f32_e32 v32, v32
	v_cmp_nge_f32_e32 vcc_lo, 0xcf000000, v8
	v_lshlrev_b32_e32 v41, 16, v21
	v_and_b32_e32 v21, 0xffff0000, v21
	v_and_b32_e32 v22, 0xffff0000, v22
	v_rndne_f32_e32 v33, v33
	v_cndmask_b32_e32 v46, 0xcf000000, v8, vcc_lo
	v_dual_mul_f32 v41, v14, v41 :: v_dual_and_b32 v26, 0xffff0000, v26
	v_mul_f32_e32 v21, v14, v21
	v_dual_mul_f32 v22, v14, v22 :: v_dual_and_b32 v19, 0xffff0000, v19
	s_delay_alu instid0(VALU_DEP_3) | instskip(NEXT) | instid1(VALU_DEP_2)
	v_dual_mul_f32 v26, v14, v26 :: v_dual_lshlrev_b32 v39, 16, v20
	v_dual_mul_f32 v19, v14, v19 :: v_dual_and_b32 v20, 0xffff0000, v20
	v_lshlrev_b32_e32 v35, 16, v18
	v_cmp_nge_f32_e32 vcc_lo, 0xcf000000, v13
	v_rndne_f32_e32 v10, v10
	s_delay_alu instid0(VALU_DEP_4) | instskip(NEXT) | instid1(VALU_DEP_4)
	v_mul_f32_e32 v20, v14, v20
	v_dual_mul_f32 v35, v14, v35 :: v_dual_lshlrev_b32 v38, 16, v24
	v_and_b32_e32 v17, 0xffff0000, v17
	v_cndmask_b32_e32 v47, 0xcf000000, v13, vcc_lo
	v_cmp_nge_f32_e32 vcc_lo, 0xcf000000, v15
	s_delay_alu instid0(VALU_DEP_4) | instskip(NEXT) | instid1(VALU_DEP_4)
	v_mul_f32_e32 v38, v14, v38
	v_dual_mul_f32 v17, v14, v17 :: v_dual_and_b32 v18, 0xffff0000, v18
	v_and_b32_e32 v9, 0xffff0000, v9
	v_dual_mul_f32 v25, v14, v25 :: v_dual_cndmask_b32 v48, 0xcf000000, v15
	s_delay_alu instid0(VALU_DEP_3) | instskip(SKIP_1) | instid1(VALU_DEP_4)
	v_mul_f32_e32 v18, v14, v18
	v_cmp_nge_f32_e32 vcc_lo, 0xcf000000, v31
	v_mul_f32_e32 v9, v14, v9
	v_rndne_f32_e32 v17, v17
	v_and_b32_e32 v24, 0xffff0000, v24
	v_and_b32_e32 v11, 0xffff0000, v11
	v_cndmask_b32_e32 v49, 0xcf000000, v31, vcc_lo
	v_rndne_f32_e32 v9, v9
	v_rndne_f32_e32 v34, v34
	v_mul_f32_e32 v24, v14, v24
	v_mul_f32_e32 v11, v14, v11
	v_rndne_f32_e32 v35, v35
	v_cmp_nge_f32_e32 vcc_lo, 0xcf000000, v9
	v_mul_f32_e32 v43, v14, v43
	v_rndne_f32_e32 v18, v18
	v_rndne_f32_e32 v11, v11
	v_dual_mul_f32 v39, v14, v39 :: v_dual_cndmask_b32 v50, 0xcf000000, v9
	v_cmp_nge_f32_e32 vcc_lo, 0xcf000000, v16
	v_dual_mul_f32 v42, v14, v42 :: v_dual_and_b32 v23, 0xffff0000, v23
	v_rndne_f32_e32 v36, v36
	v_rndne_f32_e32 v37, v37
	v_cndmask_b32_e32 v51, 0xcf000000, v16, vcc_lo
	v_cmp_nge_f32_e32 vcc_lo, 0xcf000000, v32
	v_mul_f32_e32 v23, v14, v23
	v_rndne_f32_e32 v19, v19
	v_rndne_f32_e32 v38, v38
	;; [unrolled: 1-line block ×3, first 2 shown]
	v_cndmask_b32_e32 v52, 0xcf000000, v32, vcc_lo
	v_cmp_nge_f32_e32 vcc_lo, 0xcf000000, v33
	v_rndne_f32_e32 v23, v23
	v_rndne_f32_e32 v24, v24
	;; [unrolled: 1-line block ×4, first 2 shown]
	v_cndmask_b32_e32 v53, 0xcf000000, v33, vcc_lo
	v_cmp_nge_f32_e32 vcc_lo, 0xcf000000, v10
	v_rndne_f32_e32 v41, v41
	v_rndne_f32_e32 v25, v25
	v_rndne_f32_e32 v21, v21
	v_rndne_f32_e32 v42, v42
	v_cndmask_b32_e32 v54, 0xcf000000, v10, vcc_lo
	v_cmp_nge_f32_e32 vcc_lo, 0xcf000000, v17
	v_cmp_nle_f32_e64 s1, 0x4f000000, v8
	v_cvt_i32_f32_e32 v8, v49
	v_cmp_nle_f32_e64 s2, 0x4f000000, v31
	v_cmp_nle_f32_e64 s3, 0x4f000000, v15
	v_cndmask_b32_e32 v55, 0xcf000000, v17, vcc_lo
	v_cmp_nge_f32_e32 vcc_lo, 0xcf000000, v34
	v_cvt_i32_f32_e32 v15, v51
	v_cmp_nle_f32_e64 s4, 0x4f000000, v16
	v_rndne_f32_e32 v43, v43
	v_cndmask_b32_e64 v8, 0x7fffffff, v8, s2
	v_cndmask_b32_e32 v56, 0xcf000000, v34, vcc_lo
	v_cmp_nge_f32_e32 vcc_lo, 0xcf000000, v35
	v_cndmask_b32_e64 v15, 0x7fffffff, v15, s4
	v_rndne_f32_e32 v26, v26
	v_cmp_nle_f32_e64 s17, 0x4f000000, v23
	v_cmp_nle_f32_e64 s18, 0x4f000000, v39
	v_cndmask_b32_e32 v57, 0xcf000000, v35, vcc_lo
	v_cmp_nge_f32_e32 vcc_lo, 0xcf000000, v11
	v_cmp_nle_f32_e64 s19, 0x4f000000, v38
	v_cmp_nle_f32_e64 s20, 0x4f000000, v20
	v_add_nc_u32_e32 v8, s60, v8
	v_add_nc_u32_e32 v15, s60, v15
	v_cndmask_b32_e32 v58, 0xcf000000, v11, vcc_lo
	v_cmp_nge_f32_e32 vcc_lo, 0xcf000000, v18
	v_rndne_f32_e32 v22, v22
	v_med3_i32 v8, v8, s61, 0x7f
	v_med3_i32 v15, v15, s61, 0x7f
	v_cvt_i32_f32_e32 v45, v45
	v_cndmask_b32_e32 v59, 0xcf000000, v18, vcc_lo
	v_cmp_nge_f32_e32 vcc_lo, 0xcf000000, v36
	v_and_b32_e32 v8, 0xff, v8
	v_lshlrev_b16 v15, 8, v15
	v_cmp_nle_f32_e64 s0, 0x4f000000, v13
	v_cmp_nle_f32_e64 s5, 0x4f000000, v9
	v_cndmask_b32_e32 v60, 0xcf000000, v36, vcc_lo
	v_cmp_nge_f32_e32 vcc_lo, 0xcf000000, v37
	v_or_b32_e32 v8, v8, v15
	v_cvt_i32_f32_e32 v9, v53
	v_cmp_nle_f32_e64 s6, 0x4f000000, v33
	v_cmp_nle_f32_e64 s7, 0x4f000000, v32
	v_cndmask_b32_e32 v61, 0xcf000000, v37, vcc_lo
	v_cmp_nge_f32_e32 vcc_lo, 0xcf000000, v23
	v_cvt_i32_f32_e32 v32, v55
	v_cmp_nle_f32_e64 s8, 0x4f000000, v17
	v_cmp_nle_f32_e64 s9, 0x4f000000, v10
	v_cvt_i32_f32_e32 v10, v57
	v_cndmask_b32_e32 v62, 0xcf000000, v23, vcc_lo
	v_cmp_nge_f32_e32 vcc_lo, 0xcf000000, v19
	v_cmp_nle_f32_e64 s10, 0x4f000000, v35
	v_cmp_nle_f32_e64 s11, 0x4f000000, v34
	v_cvt_i32_f32_e32 v34, v59
	v_cmp_nle_f32_e64 s12, 0x4f000000, v18
	v_cndmask_b32_e32 v63, 0xcf000000, v19, vcc_lo
	v_cmp_nge_f32_e32 vcc_lo, 0xcf000000, v38
	v_cmp_nle_f32_e64 s13, 0x4f000000, v11
	v_cvt_i32_f32_e32 v11, v61
	v_cmp_nle_f32_e64 s14, 0x4f000000, v37
	v_cmp_nle_f32_e64 s15, 0x4f000000, v36
	v_cndmask_b32_e32 v64, 0xcf000000, v38, vcc_lo
	v_cmp_nge_f32_e32 vcc_lo, 0xcf000000, v39
	v_cvt_i32_f32_e32 v36, v63
	v_cmp_nle_f32_e64 s16, 0x4f000000, v19
	v_cmp_nle_f32_e64 s21, 0x4f000000, v24
	;; [unrolled: 1-line block ×3, first 2 shown]
	v_cndmask_b32_e32 v65, 0xcf000000, v39, vcc_lo
	v_cmp_nge_f32_e32 vcc_lo, 0xcf000000, v24
	v_cmp_nle_f32_e64 s23, 0x4f000000, v40
	v_cmp_nle_f32_e64 s24, 0x4f000000, v21
	;; [unrolled: 1-line block ×3, first 2 shown]
	v_cvt_i32_f32_e32 v23, v65
	v_cndmask_b32_e32 v66, 0xcf000000, v24, vcc_lo
	v_cmp_nge_f32_e32 vcc_lo, 0xcf000000, v20
	v_cmp_nle_f32_e64 s26, 0x4f000000, v43
	v_cmp_nle_f32_e64 s27, 0x4f000000, v42
	v_cndmask_b32_e64 v23, 0x7fffffff, v23, s18
	v_cmp_nle_f32_e64 s28, 0x4f000000, v22
	v_cndmask_b32_e32 v67, 0xcf000000, v20, vcc_lo
	v_cmp_nge_f32_e32 vcc_lo, 0xcf000000, v40
	v_cmp_nle_f32_e64 s30, 0x4f000000, v1
	v_add_nc_u32_e32 v23, s60, v23
	v_lshlrev_b32_e32 v8, 16, v8
	v_cvt_i32_f32_e32 v38, v67
	v_cndmask_b32_e32 v68, 0xcf000000, v40, vcc_lo
	v_cmp_nge_f32_e32 vcc_lo, 0xcf000000, v41
	v_med3_i32 v23, v23, s61, 0x7f
	v_cmp_nle_f32_e64 s29, 0x4f000000, v26
	v_cndmask_b32_e64 v38, 0x7fffffff, v38, s20
	v_cndmask_b32_e64 v9, 0x7fffffff, v9, s6
	v_cndmask_b32_e32 v69, 0xcf000000, v41, vcc_lo
	v_cmp_nge_f32_e32 vcc_lo, 0xcf000000, v25
	v_and_b32_e32 v23, 0xff, v23
	v_add_nc_u32_e32 v38, s60, v38
	v_cndmask_b32_e64 v32, 0x7fffffff, v32, s8
	v_cvt_i32_f32_e32 v24, v69
	v_cndmask_b32_e32 v70, 0xcf000000, v25, vcc_lo
	v_cmp_nge_f32_e32 vcc_lo, 0xcf000000, v21
	v_med3_i32 v38, v38, s61, 0x7f
	v_cndmask_b32_e64 v10, 0x7fffffff, v10, s10
	v_cndmask_b32_e64 v34, 0x7fffffff, v34, s12
	v_cndmask_b32_e64 v11, 0x7fffffff, v11, s14
	v_cndmask_b32_e32 v71, 0xcf000000, v21, vcc_lo
	v_cmp_nge_f32_e32 vcc_lo, 0xcf000000, v42
	v_lshlrev_b16 v38, 8, v38
	v_cndmask_b32_e64 v36, 0x7fffffff, v36, s16
	v_cndmask_b32_e64 v24, 0x7fffffff, v24, s22
	v_cvt_i32_f32_e32 v40, v71
	v_cndmask_b32_e32 v72, 0xcf000000, v42, vcc_lo
	v_cmp_nge_f32_e32 vcc_lo, 0xcf000000, v43
	v_or_b32_e32 v15, v23, v38
	v_cvt_i32_f32_e32 v13, v46
	v_cndmask_b32_e64 v40, 0x7fffffff, v40, s24
	v_cvt_i32_f32_e32 v31, v48
	v_cndmask_b32_e32 v73, 0xcf000000, v43, vcc_lo
	v_cmp_nge_f32_e32 vcc_lo, 0xcf000000, v26
	v_cvt_i32_f32_e32 v16, v50
	v_cvt_i32_f32_e32 v33, v52
	;; [unrolled: 1-line block ×4, first 2 shown]
	v_cndmask_b32_e32 v74, 0xcf000000, v26, vcc_lo
	v_cmp_nge_f32_e32 vcc_lo, 0xcf000000, v22
	v_cvt_i32_f32_e32 v18, v58
	v_cvt_i32_f32_e32 v37, v60
	v_cndmask_b32_e64 v25, 0x7fffffff, v25, s26
	v_cvt_i32_f32_e32 v19, v62
	v_cndmask_b32_e32 v75, 0xcf000000, v22, vcc_lo
	v_cmp_nle_f32_e32 vcc_lo, 0x4f000000, v12
	v_cvt_i32_f32_e32 v12, v44
	v_cvt_i32_f32_e32 v44, v47
	;; [unrolled: 1-line block ×4, first 2 shown]
	v_add_nc_u32_e32 v9, s60, v9
	v_cndmask_b32_e64 v1, 0x7fffffff, v12, s30
	v_cndmask_b32_e32 v12, 0x7fffffff, v45, vcc_lo
	v_cndmask_b32_e64 v26, 0x7fffffff, v44, s0
	v_cndmask_b32_e64 v42, 0x7fffffff, v42, s28
	v_add_nc_u32_e32 v32, s60, v32
	v_add_nc_u32_e32 v10, s60, v10
	;; [unrolled: 1-line block ×11, first 2 shown]
	v_lshlrev_b32_e32 v15, 16, v15
	v_cvt_i32_f32_e32 v17, v54
	v_cndmask_b32_e64 v13, 0x7fffffff, v13, s1
	v_cndmask_b32_e64 v31, 0x7fffffff, v31, s3
	;; [unrolled: 1-line block ×10, first 2 shown]
	v_add_nc_u32_e32 v1, s33, v1
	v_med3_i32 v12, v12, s61, 0x7f
	v_med3_i32 v26, v26, s61, 0x7f
	;; [unrolled: 1-line block ×12, first 2 shown]
	v_cvt_i32_f32_e32 v20, v66
	v_cvt_i32_f32_e32 v41, v68
	v_add_nc_u32_e32 v13, s33, v13
	v_cvt_i32_f32_e32 v21, v70
	v_add_nc_u32_e32 v31, s33, v31
	;; [unrolled: 2-line block ×4, first 2 shown]
	v_add_nc_u32_e32 v17, s33, v17
	v_add_nc_u32_e32 v35, s33, v35
	;; [unrolled: 1-line block ×6, first 2 shown]
	v_med3_i32 v1, v1, s61, 0x7f
	v_and_b32_e32 v12, 0xff, v12
	v_lshlrev_b16 v26, 8, v26
	v_and_b32_e32 v9, 0xff, v9
	v_lshlrev_b16 v32, 8, v32
	;; [unrolled: 2-line block ×6, first 2 shown]
	v_cndmask_b32_e64 v20, 0x7fffffff, v20, s21
	v_cndmask_b32_e64 v41, 0x7fffffff, v41, s23
	v_med3_i32 v13, v13, s61, 0x7f
	v_cndmask_b32_e64 v21, 0x7fffffff, v21, s25
	v_med3_i32 v31, v31, s61, 0x7f
	;; [unrolled: 2-line block ×4, first 2 shown]
	v_med3_i32 v17, v17, s61, 0x7f
	v_med3_i32 v35, v35, s61, 0x7f
	;; [unrolled: 1-line block ×6, first 2 shown]
	s_clause 0xa
	global_store_b8 v[27:28], v1, off
	global_store_b8 v[27:28], v13, off offset:1
	global_store_b8 v[27:28], v31, off offset:2
	;; [unrolled: 1-line block ×10, first 2 shown]
	v_or_b32_e32 v1, v12, v26
	v_or_b32_e32 v9, v9, v32
	;; [unrolled: 1-line block ×6, first 2 shown]
	v_add_nc_u32_e32 v20, s33, v20
	v_add_nc_u32_e32 v41, s33, v41
	;; [unrolled: 1-line block ×4, first 2 shown]
	v_lshlrev_b32_e32 v17, 16, v10
	v_add_nc_u32_e32 v22, s33, v22
	v_and_b32_e32 v12, 0xffff, v12
	v_lshlrev_b32_e32 v13, 16, v13
	v_and_b32_e32 v16, 0xffff, v11
	v_and_b32_e32 v9, 0xffff, v9
	;; [unrolled: 1-line block ×3, first 2 shown]
	v_med3_i32 v20, v20, s61, 0x7f
	v_med3_i32 v41, v41, s61, 0x7f
	;; [unrolled: 1-line block ×5, first 2 shown]
	v_or_b32_e32 v11, v12, v13
	v_or_b32_e32 v10, v16, v15
	;; [unrolled: 1-line block ×4, first 2 shown]
	s_clause 0x5
	global_store_b8 v[27:28], v20, off offset:11
	global_store_b8 v[27:28], v41, off offset:12
	;; [unrolled: 1-line block ×5, first 2 shown]
	global_store_b128 v[29:30], v[8:11], off
	s_and_not1_b32 exec_lo, exec_lo, s59
	s_cbranch_execnz .LBB5_16
; %bb.17:
	s_or_b32 exec_lo, exec_lo, s59
	v_cmp_ne_u32_e32 vcc_lo, v5, v6
	v_add_nc_u32_e32 v9, v0, v6
	s_or_not1_b32 s0, vcc_lo, exec_lo
.LBB5_18:
	s_or_b32 exec_lo, exec_lo, s58
	s_delay_alu instid0(SALU_CYCLE_1)
	s_and_b32 exec_lo, exec_lo, s0
	s_cbranch_execz .LBB5_85
; %bb.19:
	v_mov_b32_e32 v10, 0
	s_add_u32 s0, s44, s40
	s_addc_u32 s1, s45, s41
	s_add_u32 s0, s38, s0
	s_addc_u32 s2, s39, s1
	v_lshlrev_b64 v[1:2], 4, v[9:10]
	v_lshlrev_b64 v[3:4], 5, v[9:10]
	s_lshl_b32 s1, s31, 4
	s_movk_i32 s4, 0xff80
	s_delay_alu instid0(VALU_DEP_2)
	v_add_co_u32 v10, vcc_lo, s0, v1
	s_add_u32 s0, s36, s46
	v_add_co_ci_u32_e32 v11, vcc_lo, s2, v2, vcc_lo
	s_addc_u32 s2, s37, s47
	s_add_u32 s0, s0, s34
	s_addc_u32 s2, s2, s35
	v_add_co_u32 v12, vcc_lo, s0, v3
	v_add_co_ci_u32_e32 v13, vcc_lo, s2, v4, vcc_lo
	s_mov_b32 s2, 0
	s_lshl_b32 s3, s31, 5
	s_branch .LBB5_22
.LBB5_20:                               ;   in Loop: Header=BB5_22 Depth=1
	s_or_b32 exec_lo, exec_lo, s5
.LBB5_21:                               ;   in Loop: Header=BB5_22 Depth=1
	s_delay_alu instid0(SALU_CYCLE_1)
	s_or_b32 exec_lo, exec_lo, s0
	v_add_nc_u32_e32 v4, s33, v23
	v_add_nc_u32_e32 v20, s33, v20
	;; [unrolled: 1-line block ×5, first 2 shown]
	v_med3_i32 v4, v4, s4, 0x7f
	v_med3_i32 v20, v20, s4, 0x7f
	;; [unrolled: 1-line block ×4, first 2 shown]
	v_add_nc_u32_e32 v2, s33, v2
	v_add_nc_u32_e32 v21, s33, v21
	;; [unrolled: 1-line block ×9, first 2 shown]
	v_lshlrev_b16 v3, 8, v3
	v_and_b32_e32 v4, 0xff, v4
	v_lshlrev_b16 v20, 8, v20
	v_and_b32_e32 v8, 0xff, v8
	v_add_nc_u32_e32 v15, s33, v15
	v_add_nc_u32_e32 v16, s33, v16
	v_med3_i32 v22, v22, s4, 0x7f
	v_med3_i32 v2, v2, s4, 0x7f
	;; [unrolled: 1-line block ×10, first 2 shown]
	v_or_b32_e32 v3, v4, v3
	v_or_b32_e32 v4, v8, v20
	v_med3_i32 v8, v15, s4, 0x7f
	v_med3_i32 v15, v16, s4, 0x7f
	v_lshlrev_b16 v22, 8, v22
	v_and_b32_e32 v2, 0xff, v2
	v_and_b32_e32 v16, 0xffff, v4
	v_lshlrev_b16 v4, 8, v21
	v_and_b32_e32 v1, 0xff, v1
	v_lshlrev_b16 v18, 8, v18
	;; [unrolled: 2-line block ×5, first 2 shown]
	v_and_b32_e32 v17, 0xff, v17
	v_or_b32_e32 v2, v2, v22
	v_or_b32_e32 v1, v1, v4
	;; [unrolled: 1-line block ×6, first 2 shown]
	v_and_b32_e32 v2, 0xffff, v2
	v_lshlrev_b32_e32 v3, 16, v3
	v_lshlrev_b32_e32 v1, 16, v1
	v_and_b32_e32 v8, 0xffff, v4
	v_lshlrev_b32_e32 v6, 16, v6
	v_and_b32_e32 v7, 0xffff, v7
	v_lshlrev_b32_e32 v5, 16, v5
	v_or_b32_e32 v4, v2, v3
	v_or_b32_e32 v3, v16, v1
	;; [unrolled: 1-line block ×3, first 2 shown]
	v_add_nc_u32_e32 v9, s31, v9
	v_or_b32_e32 v1, v7, v5
	v_add_co_u32 v12, s0, v12, s3
	s_delay_alu instid0(VALU_DEP_1)
	v_add_co_ci_u32_e64 v13, s0, 0, v13, s0
	global_store_b128 v[10:11], v[1:4], off
	v_add_co_u32 v10, vcc_lo, v10, s1
	v_add_co_ci_u32_e32 v11, vcc_lo, 0, v11, vcc_lo
	v_cmp_le_i32_e32 vcc_lo, s56, v9
	s_or_b32 s2, vcc_lo, s2
	s_delay_alu instid0(SALU_CYCLE_1)
	s_and_not1_b32 exec_lo, exec_lo, s2
	s_cbranch_execz .LBB5_85
.LBB5_22:                               ; =>This Inner Loop Header: Depth=1
	s_clause 0x1
	global_load_b128 v[5:8], v[12:13], off
	global_load_b128 v[1:4], v[12:13], off offset:16
	v_bfrev_b32_e32 v16, -2
	s_mov_b32 s0, exec_lo
	s_waitcnt vmcnt(1)
	v_lshlrev_b32_e32 v15, 16, v5
	s_delay_alu instid0(VALU_DEP_1) | instskip(NEXT) | instid1(VALU_DEP_1)
	v_mul_f32_e32 v15, v14, v15
	v_rndne_f32_e32 v17, v15
	v_bfrev_b32_e32 v15, -2
	s_delay_alu instid0(VALU_DEP_2)
	v_cmpx_nle_f32_e32 0x4f000000, v17
	s_cbranch_execz .LBB5_26
; %bb.23:                               ;   in Loop: Header=BB5_22 Depth=1
	v_bfrev_b32_e32 v16, 1
	s_mov_b32 s5, exec_lo
	v_cmpx_nge_f32_e32 0xcf000000, v17
; %bb.24:                               ;   in Loop: Header=BB5_22 Depth=1
	v_cvt_i32_f32_e32 v16, v17
; %bb.25:                               ;   in Loop: Header=BB5_22 Depth=1
	s_or_b32 exec_lo, exec_lo, s5
.LBB5_26:                               ;   in Loop: Header=BB5_22 Depth=1
	s_delay_alu instid0(SALU_CYCLE_1) | instskip(SKIP_2) | instid1(VALU_DEP_1)
	s_or_b32 exec_lo, exec_lo, s0
	v_and_b32_e32 v5, 0xffff0000, v5
	s_mov_b32 s0, exec_lo
	v_mul_f32_e32 v5, v14, v5
	s_delay_alu instid0(VALU_DEP_1) | instskip(NEXT) | instid1(VALU_DEP_1)
	v_rndne_f32_e32 v5, v5
	v_cmpx_nle_f32_e32 0x4f000000, v5
	s_cbranch_execz .LBB5_30
; %bb.27:                               ;   in Loop: Header=BB5_22 Depth=1
	v_bfrev_b32_e32 v15, 1
	s_mov_b32 s5, exec_lo
	v_cmpx_nge_f32_e32 0xcf000000, v5
; %bb.28:                               ;   in Loop: Header=BB5_22 Depth=1
	v_cvt_i32_f32_e32 v15, v5
; %bb.29:                               ;   in Loop: Header=BB5_22 Depth=1
	s_or_b32 exec_lo, exec_lo, s5
.LBB5_30:                               ;   in Loop: Header=BB5_22 Depth=1
	s_delay_alu instid0(SALU_CYCLE_1) | instskip(SKIP_3) | instid1(VALU_DEP_2)
	s_or_b32 exec_lo, exec_lo, s0
	v_lshlrev_b32_e32 v5, 16, v6
	v_bfrev_b32_e32 v17, -2
	s_mov_b32 s0, exec_lo
	v_mul_f32_e32 v5, v14, v5
	s_delay_alu instid0(VALU_DEP_1) | instskip(SKIP_1) | instid1(VALU_DEP_2)
	v_rndne_f32_e32 v18, v5
	v_bfrev_b32_e32 v5, -2
	v_cmpx_nle_f32_e32 0x4f000000, v18
	s_cbranch_execz .LBB5_34
; %bb.31:                               ;   in Loop: Header=BB5_22 Depth=1
	v_bfrev_b32_e32 v17, 1
	s_mov_b32 s5, exec_lo
	v_cmpx_nge_f32_e32 0xcf000000, v18
; %bb.32:                               ;   in Loop: Header=BB5_22 Depth=1
	v_cvt_i32_f32_e32 v17, v18
; %bb.33:                               ;   in Loop: Header=BB5_22 Depth=1
	s_or_b32 exec_lo, exec_lo, s5
.LBB5_34:                               ;   in Loop: Header=BB5_22 Depth=1
	s_delay_alu instid0(SALU_CYCLE_1) | instskip(SKIP_2) | instid1(VALU_DEP_1)
	s_or_b32 exec_lo, exec_lo, s0
	v_and_b32_e32 v6, 0xffff0000, v6
	s_mov_b32 s0, exec_lo
	v_mul_f32_e32 v6, v14, v6
	s_delay_alu instid0(VALU_DEP_1) | instskip(NEXT) | instid1(VALU_DEP_1)
	v_rndne_f32_e32 v6, v6
	v_cmpx_nle_f32_e32 0x4f000000, v6
	s_cbranch_execz .LBB5_38
; %bb.35:                               ;   in Loop: Header=BB5_22 Depth=1
	v_bfrev_b32_e32 v5, 1
	s_mov_b32 s5, exec_lo
	v_cmpx_nge_f32_e32 0xcf000000, v6
; %bb.36:                               ;   in Loop: Header=BB5_22 Depth=1
	v_cvt_i32_f32_e32 v5, v6
; %bb.37:                               ;   in Loop: Header=BB5_22 Depth=1
	s_or_b32 exec_lo, exec_lo, s5
.LBB5_38:                               ;   in Loop: Header=BB5_22 Depth=1
	s_delay_alu instid0(SALU_CYCLE_1) | instskip(SKIP_3) | instid1(VALU_DEP_2)
	s_or_b32 exec_lo, exec_lo, s0
	v_lshlrev_b32_e32 v6, 16, v7
	v_bfrev_b32_e32 v18, -2
	s_mov_b32 s0, exec_lo
	v_mul_f32_e32 v6, v14, v6
	s_delay_alu instid0(VALU_DEP_1) | instskip(SKIP_1) | instid1(VALU_DEP_2)
	v_rndne_f32_e32 v19, v6
	v_bfrev_b32_e32 v6, -2
	;; [unrolled: 38-line block ×3, first 2 shown]
	v_cmpx_nle_f32_e32 0x4f000000, v20
	s_cbranch_execz .LBB5_50
; %bb.47:                               ;   in Loop: Header=BB5_22 Depth=1
	v_bfrev_b32_e32 v7, 1
	s_mov_b32 s5, exec_lo
	v_cmpx_nge_f32_e32 0xcf000000, v20
; %bb.48:                               ;   in Loop: Header=BB5_22 Depth=1
	v_cvt_i32_f32_e32 v7, v20
; %bb.49:                               ;   in Loop: Header=BB5_22 Depth=1
	s_or_b32 exec_lo, exec_lo, s5
.LBB5_50:                               ;   in Loop: Header=BB5_22 Depth=1
	s_delay_alu instid0(SALU_CYCLE_1) | instskip(SKIP_2) | instid1(VALU_DEP_1)
	s_or_b32 exec_lo, exec_lo, s0
	v_and_b32_e32 v8, 0xffff0000, v8
	s_mov_b32 s0, exec_lo
	v_mul_f32_e32 v8, v14, v8
	s_delay_alu instid0(VALU_DEP_1) | instskip(NEXT) | instid1(VALU_DEP_1)
	v_rndne_f32_e32 v8, v8
	v_cmpx_nle_f32_e32 0x4f000000, v8
	s_cbranch_execz .LBB5_54
; %bb.51:                               ;   in Loop: Header=BB5_22 Depth=1
	v_bfrev_b32_e32 v19, 1
	s_mov_b32 s5, exec_lo
	v_cmpx_nge_f32_e32 0xcf000000, v8
; %bb.52:                               ;   in Loop: Header=BB5_22 Depth=1
	v_cvt_i32_f32_e32 v19, v8
; %bb.53:                               ;   in Loop: Header=BB5_22 Depth=1
	s_or_b32 exec_lo, exec_lo, s5
.LBB5_54:                               ;   in Loop: Header=BB5_22 Depth=1
	s_delay_alu instid0(SALU_CYCLE_1) | instskip(SKIP_4) | instid1(VALU_DEP_2)
	s_or_b32 exec_lo, exec_lo, s0
	s_waitcnt vmcnt(0)
	v_lshlrev_b32_e32 v8, 16, v1
	v_bfrev_b32_e32 v20, -2
	s_mov_b32 s0, exec_lo
	v_mul_f32_e32 v8, v14, v8
	s_delay_alu instid0(VALU_DEP_1) | instskip(SKIP_1) | instid1(VALU_DEP_2)
	v_rndne_f32_e32 v21, v8
	v_bfrev_b32_e32 v8, -2
	v_cmpx_nle_f32_e32 0x4f000000, v21
	s_cbranch_execz .LBB5_58
; %bb.55:                               ;   in Loop: Header=BB5_22 Depth=1
	v_bfrev_b32_e32 v8, 1
	s_mov_b32 s5, exec_lo
	v_cmpx_nge_f32_e32 0xcf000000, v21
; %bb.56:                               ;   in Loop: Header=BB5_22 Depth=1
	v_cvt_i32_f32_e32 v8, v21
; %bb.57:                               ;   in Loop: Header=BB5_22 Depth=1
	s_or_b32 exec_lo, exec_lo, s5
.LBB5_58:                               ;   in Loop: Header=BB5_22 Depth=1
	s_delay_alu instid0(SALU_CYCLE_1) | instskip(SKIP_2) | instid1(VALU_DEP_1)
	s_or_b32 exec_lo, exec_lo, s0
	v_and_b32_e32 v1, 0xffff0000, v1
	s_mov_b32 s0, exec_lo
	v_mul_f32_e32 v1, v14, v1
	s_delay_alu instid0(VALU_DEP_1) | instskip(NEXT) | instid1(VALU_DEP_1)
	v_rndne_f32_e32 v1, v1
	v_cmpx_nle_f32_e32 0x4f000000, v1
	s_cbranch_execz .LBB5_62
; %bb.59:                               ;   in Loop: Header=BB5_22 Depth=1
	v_bfrev_b32_e32 v20, 1
	s_mov_b32 s5, exec_lo
	v_cmpx_nge_f32_e32 0xcf000000, v1
; %bb.60:                               ;   in Loop: Header=BB5_22 Depth=1
	v_cvt_i32_f32_e32 v20, v1
; %bb.61:                               ;   in Loop: Header=BB5_22 Depth=1
	s_or_b32 exec_lo, exec_lo, s5
.LBB5_62:                               ;   in Loop: Header=BB5_22 Depth=1
	s_delay_alu instid0(SALU_CYCLE_1) | instskip(SKIP_3) | instid1(VALU_DEP_2)
	s_or_b32 exec_lo, exec_lo, s0
	v_lshlrev_b32_e32 v1, 16, v2
	v_bfrev_b32_e32 v21, -2
	s_mov_b32 s0, exec_lo
	v_mul_f32_e32 v1, v14, v1
	s_delay_alu instid0(VALU_DEP_1) | instskip(SKIP_1) | instid1(VALU_DEP_2)
	v_rndne_f32_e32 v22, v1
	v_bfrev_b32_e32 v1, -2
	v_cmpx_nle_f32_e32 0x4f000000, v22
	s_cbranch_execz .LBB5_66
; %bb.63:                               ;   in Loop: Header=BB5_22 Depth=1
	v_bfrev_b32_e32 v1, 1
	s_mov_b32 s5, exec_lo
	v_cmpx_nge_f32_e32 0xcf000000, v22
; %bb.64:                               ;   in Loop: Header=BB5_22 Depth=1
	v_cvt_i32_f32_e32 v1, v22
; %bb.65:                               ;   in Loop: Header=BB5_22 Depth=1
	s_or_b32 exec_lo, exec_lo, s5
.LBB5_66:                               ;   in Loop: Header=BB5_22 Depth=1
	s_delay_alu instid0(SALU_CYCLE_1) | instskip(SKIP_2) | instid1(VALU_DEP_1)
	s_or_b32 exec_lo, exec_lo, s0
	v_and_b32_e32 v2, 0xffff0000, v2
	s_mov_b32 s0, exec_lo
	v_mul_f32_e32 v2, v14, v2
	s_delay_alu instid0(VALU_DEP_1) | instskip(NEXT) | instid1(VALU_DEP_1)
	v_rndne_f32_e32 v2, v2
	v_cmpx_nle_f32_e32 0x4f000000, v2
	s_cbranch_execz .LBB5_70
; %bb.67:                               ;   in Loop: Header=BB5_22 Depth=1
	v_bfrev_b32_e32 v21, 1
	s_mov_b32 s5, exec_lo
	v_cmpx_nge_f32_e32 0xcf000000, v2
; %bb.68:                               ;   in Loop: Header=BB5_22 Depth=1
	v_cvt_i32_f32_e32 v21, v2
; %bb.69:                               ;   in Loop: Header=BB5_22 Depth=1
	s_or_b32 exec_lo, exec_lo, s5
.LBB5_70:                               ;   in Loop: Header=BB5_22 Depth=1
	s_delay_alu instid0(SALU_CYCLE_1) | instskip(SKIP_3) | instid1(VALU_DEP_2)
	s_or_b32 exec_lo, exec_lo, s0
	v_lshlrev_b32_e32 v2, 16, v3
	v_bfrev_b32_e32 v22, -2
	s_mov_b32 s0, exec_lo
	v_mul_f32_e32 v2, v14, v2
	s_delay_alu instid0(VALU_DEP_1) | instskip(SKIP_1) | instid1(VALU_DEP_2)
	v_rndne_f32_e32 v23, v2
	v_bfrev_b32_e32 v2, -2
	v_cmpx_nle_f32_e32 0x4f000000, v23
	s_cbranch_execz .LBB5_74
; %bb.71:                               ;   in Loop: Header=BB5_22 Depth=1
	v_bfrev_b32_e32 v2, 1
	s_mov_b32 s5, exec_lo
	v_cmpx_nge_f32_e32 0xcf000000, v23
; %bb.72:                               ;   in Loop: Header=BB5_22 Depth=1
	v_cvt_i32_f32_e32 v2, v23
; %bb.73:                               ;   in Loop: Header=BB5_22 Depth=1
	s_or_b32 exec_lo, exec_lo, s5
.LBB5_74:                               ;   in Loop: Header=BB5_22 Depth=1
	s_delay_alu instid0(SALU_CYCLE_1) | instskip(SKIP_2) | instid1(VALU_DEP_1)
	s_or_b32 exec_lo, exec_lo, s0
	v_and_b32_e32 v3, 0xffff0000, v3
	s_mov_b32 s0, exec_lo
	v_mul_f32_e32 v3, v14, v3
	s_delay_alu instid0(VALU_DEP_1) | instskip(NEXT) | instid1(VALU_DEP_1)
	v_rndne_f32_e32 v3, v3
	v_cmpx_nle_f32_e32 0x4f000000, v3
	s_cbranch_execz .LBB5_78
; %bb.75:                               ;   in Loop: Header=BB5_22 Depth=1
	v_bfrev_b32_e32 v22, 1
	s_mov_b32 s5, exec_lo
	v_cmpx_nge_f32_e32 0xcf000000, v3
; %bb.76:                               ;   in Loop: Header=BB5_22 Depth=1
	v_cvt_i32_f32_e32 v22, v3
; %bb.77:                               ;   in Loop: Header=BB5_22 Depth=1
	s_or_b32 exec_lo, exec_lo, s5
.LBB5_78:                               ;   in Loop: Header=BB5_22 Depth=1
	s_delay_alu instid0(SALU_CYCLE_1) | instskip(SKIP_3) | instid1(VALU_DEP_2)
	s_or_b32 exec_lo, exec_lo, s0
	v_lshlrev_b32_e32 v3, 16, v4
	v_bfrev_b32_e32 v23, -2
	s_mov_b32 s0, exec_lo
	v_mul_f32_e32 v3, v14, v3
	s_delay_alu instid0(VALU_DEP_1) | instskip(SKIP_1) | instid1(VALU_DEP_2)
	v_rndne_f32_e32 v24, v3
	v_bfrev_b32_e32 v3, -2
	v_cmpx_nle_f32_e32 0x4f000000, v24
	s_cbranch_execz .LBB5_82
; %bb.79:                               ;   in Loop: Header=BB5_22 Depth=1
	v_bfrev_b32_e32 v23, 1
	s_mov_b32 s5, exec_lo
	v_cmpx_nge_f32_e32 0xcf000000, v24
; %bb.80:                               ;   in Loop: Header=BB5_22 Depth=1
	v_cvt_i32_f32_e32 v23, v24
; %bb.81:                               ;   in Loop: Header=BB5_22 Depth=1
	s_or_b32 exec_lo, exec_lo, s5
.LBB5_82:                               ;   in Loop: Header=BB5_22 Depth=1
	s_delay_alu instid0(SALU_CYCLE_1) | instskip(SKIP_2) | instid1(VALU_DEP_1)
	s_or_b32 exec_lo, exec_lo, s0
	v_and_b32_e32 v4, 0xffff0000, v4
	s_mov_b32 s0, exec_lo
	v_mul_f32_e32 v4, v14, v4
	s_delay_alu instid0(VALU_DEP_1) | instskip(NEXT) | instid1(VALU_DEP_1)
	v_rndne_f32_e32 v4, v4
	v_cmpx_nle_f32_e32 0x4f000000, v4
	s_cbranch_execz .LBB5_21
; %bb.83:                               ;   in Loop: Header=BB5_22 Depth=1
	v_bfrev_b32_e32 v3, 1
	s_mov_b32 s5, exec_lo
	v_cmpx_nge_f32_e32 0xcf000000, v4
	s_cbranch_execz .LBB5_20
; %bb.84:                               ;   in Loop: Header=BB5_22 Depth=1
	v_cvt_i32_f32_e32 v3, v4
	s_branch .LBB5_20
.LBB5_85:
	s_or_b32 exec_lo, exec_lo, s57
	v_lshl_add_u32 v1, s56, 4, v0
	s_mov_b32 s1, exec_lo
	s_delay_alu instid0(VALU_DEP_1)
	v_cmpx_gt_i32_e64 s51, v1
	s_cbranch_execz .LBB5_97
; %bb.86:
	v_cvt_f32_u32_e32 v2, s31
	s_sub_i32 s0, 0, s31
	v_add_nc_u32_e32 v4, s31, v1
	s_cmp_eq_u32 s31, 1
	s_mov_b32 s3, 0
	v_rcp_iflag_f32_e32 v2, v2
	s_delay_alu instid0(VALU_DEP_1) | instskip(SKIP_3) | instid1(VALU_DEP_1)
	v_cmp_gt_i32_e32 vcc_lo, s51, v4
	v_max_i32_e32 v5, s51, v4
	s_waitcnt_depctr 0xfff
	v_mul_f32_e32 v2, 0x4f7ffffe, v2
	v_cvt_u32_f32_e32 v2, v2
	s_delay_alu instid0(VALU_DEP_1) | instskip(SKIP_1) | instid1(VALU_DEP_1)
	v_mul_lo_u32 v3, s0, v2
	v_add_co_ci_u32_e64 v4, s0, s31, v1, vcc_lo
	v_sub_nc_u32_e32 v4, v5, v4
	s_delay_alu instid0(VALU_DEP_3) | instskip(NEXT) | instid1(VALU_DEP_1)
	v_mul_hi_u32 v3, v2, v3
	v_add_nc_u32_e32 v2, v2, v3
	s_delay_alu instid0(VALU_DEP_1) | instskip(NEXT) | instid1(VALU_DEP_1)
	v_mul_hi_u32 v2, v4, v2
	v_mul_lo_u32 v3, v2, s31
	s_delay_alu instid0(VALU_DEP_1) | instskip(SKIP_1) | instid1(VALU_DEP_2)
	v_sub_nc_u32_e32 v3, v4, v3
	v_add_nc_u32_e32 v4, 1, v2
	v_subrev_nc_u32_e32 v5, s31, v3
	v_cmp_le_u32_e64 s0, s31, v3
	s_delay_alu instid0(VALU_DEP_1) | instskip(NEXT) | instid1(VALU_DEP_3)
	v_cndmask_b32_e64 v2, v2, v4, s0
	v_cndmask_b32_e64 v3, v3, v5, s0
	s_delay_alu instid0(VALU_DEP_2) | instskip(NEXT) | instid1(VALU_DEP_2)
	v_add_nc_u32_e32 v4, 1, v2
	v_cmp_le_u32_e64 s0, s31, v3
	s_delay_alu instid0(VALU_DEP_1) | instskip(SKIP_1) | instid1(VALU_DEP_1)
	v_cndmask_b32_e64 v2, v2, v4, s0
	s_cselect_b32 s0, -1, 0
	v_add_co_ci_u32_e32 v4, vcc_lo, 1, v2, vcc_lo
	s_delay_alu instid0(VALU_DEP_1)
	v_cmp_lt_u32_e32 vcc_lo, 1, v4
	s_and_b32 s4, vcc_lo, s0
	s_mov_b32 s0, -1
	s_and_saveexec_b32 s2, s4
	s_cbranch_execz .LBB5_90
; %bb.87:
	v_dual_mov_b32 v2, v1 :: v_dual_and_b32 v5, -2, v4
	s_mov_b32 s4, s33
	s_movk_i32 s5, 0xff80
	s_delay_alu instid0(VALU_DEP_1)
	v_mov_b32_e32 v6, v5
.LBB5_88:                               ; =>This Inner Loop Header: Depth=1
	s_delay_alu instid0(VALU_DEP_2) | instskip(NEXT) | instid1(VALU_DEP_2)
	v_ashrrev_i32_e32 v3, 31, v2
	v_add_nc_u32_e32 v6, -2, v6
	s_delay_alu instid0(VALU_DEP_2) | instskip(NEXT) | instid1(VALU_DEP_1)
	v_lshlrev_b64 v[7:8], 1, v[2:3]
	v_add_co_u32 v7, vcc_lo, s52, v7
	s_delay_alu instid0(VALU_DEP_2) | instskip(SKIP_3) | instid1(VALU_DEP_1)
	v_add_co_ci_u32_e32 v8, vcc_lo, s53, v8, vcc_lo
	global_load_b32 v7, v[7:8], off
	s_waitcnt vmcnt(0)
	v_and_b32_e32 v8, 0xffff0000, v7
	v_dual_mul_f32 v8, v14, v8 :: v_dual_lshlrev_b32 v7, 16, v7
	s_delay_alu instid0(VALU_DEP_1) | instskip(NEXT) | instid1(VALU_DEP_1)
	v_rndne_f32_e32 v8, v8
	v_cmp_nge_f32_e32 vcc_lo, 0xcf000000, v8
	v_cndmask_b32_e32 v9, 0xcf000000, v8, vcc_lo
	s_delay_alu instid0(VALU_DEP_1) | instskip(SKIP_1) | instid1(VALU_DEP_1)
	v_cvt_i32_f32_e32 v9, v9
	v_mul_f32_e32 v7, v14, v7
	v_rndne_f32_e32 v7, v7
	s_delay_alu instid0(VALU_DEP_1) | instskip(SKIP_2) | instid1(VALU_DEP_2)
	v_cmp_nge_f32_e32 vcc_lo, 0xcf000000, v7
	v_cndmask_b32_e32 v10, 0xcf000000, v7, vcc_lo
	v_cmp_nle_f32_e32 vcc_lo, 0x4f000000, v8
	v_cvt_i32_f32_e32 v10, v10
	v_cndmask_b32_e32 v8, 0x7fffffff, v9, vcc_lo
	v_cmp_nle_f32_e32 vcc_lo, 0x4f000000, v7
	s_delay_alu instid0(VALU_DEP_2) | instskip(NEXT) | instid1(VALU_DEP_4)
	v_add_nc_u32_e32 v8, s4, v8
	v_cndmask_b32_e32 v7, 0x7fffffff, v10, vcc_lo
	v_cmp_eq_u32_e32 vcc_lo, 0, v6
	s_delay_alu instid0(VALU_DEP_3) | instskip(NEXT) | instid1(VALU_DEP_3)
	v_med3_i32 v8, v8, s5, 0x7f
	v_add_nc_u32_e32 v7, s33, v7
	s_or_b32 s3, vcc_lo, s3
	s_delay_alu instid0(VALU_DEP_2) | instskip(NEXT) | instid1(VALU_DEP_2)
	v_lshlrev_b16 v9, 8, v8
	v_med3_i32 v7, v7, s5, 0x7f
	s_delay_alu instid0(VALU_DEP_1) | instskip(SKIP_1) | instid1(VALU_DEP_1)
	v_and_b32_e32 v10, 0xff, v7
	v_add_co_u32 v7, s0, s54, v2
	v_add_co_ci_u32_e64 v8, s0, s55, v3, s0
	s_delay_alu instid0(VALU_DEP_3)
	v_or_b32_e32 v3, v10, v9
	v_add_nc_u32_e32 v2, 2, v2
	global_store_b16 v[7:8], v3, off
	s_and_not1_b32 exec_lo, exec_lo, s3
	s_cbranch_execnz .LBB5_88
; %bb.89:
	s_or_b32 exec_lo, exec_lo, s3
	v_cmp_ne_u32_e32 vcc_lo, v4, v5
	v_add_nc_u32_e32 v1, v1, v5
	s_or_not1_b32 s0, vcc_lo, exec_lo
.LBB5_90:
	s_or_b32 exec_lo, exec_lo, s2
	s_delay_alu instid0(SALU_CYCLE_1)
	s_and_b32 exec_lo, exec_lo, s0
	s_cbranch_execz .LBB5_97
; %bb.91:
	v_ashrrev_i32_e32 v2, 31, v1
	s_add_u32 s0, s34, s46
	s_addc_u32 s2, s35, s47
	s_add_u32 s0, s36, s0
	s_addc_u32 s2, s37, s2
	v_lshlrev_b64 v[3:4], 1, v[1:2]
	s_lshl_b32 s4, s31, 1
	s_add_u32 s3, s44, s40
	s_mov_b32 s5, 0
	s_movk_i32 s6, 0xff80
	s_delay_alu instid0(VALU_DEP_1)
	v_add_co_u32 v3, vcc_lo, s0, v3
	s_addc_u32 s0, s45, s41
	v_add_co_ci_u32_e32 v4, vcc_lo, s2, v4, vcc_lo
	s_add_u32 s2, s38, s3
	s_addc_u32 s0, s39, s0
	v_add_co_u32 v5, vcc_lo, s2, v1
	v_add_co_ci_u32_e32 v2, vcc_lo, s0, v2, vcc_lo
	s_mov_b64 s[2:3], 0
	s_set_inst_prefetch_distance 0x1
	s_branch .LBB5_94
	.p2align	6
.LBB5_92:                               ;   in Loop: Header=BB5_94 Depth=1
	s_or_b32 exec_lo, exec_lo, s7
.LBB5_93:                               ;   in Loop: Header=BB5_94 Depth=1
	s_delay_alu instid0(SALU_CYCLE_1)
	s_or_b32 exec_lo, exec_lo, s0
	v_add_co_u32 v7, vcc_lo, v5, s2
	s_add_u32 s2, s2, s31
	v_add_nc_u32_e32 v6, s33, v6
	v_add_nc_u32_e32 v9, s2, v1
	v_add_co_ci_u32_e32 v8, vcc_lo, s3, v2, vcc_lo
	v_add_co_u32 v3, s0, v3, s4
	s_delay_alu instid0(VALU_DEP_3)
	v_cmp_le_i32_e32 vcc_lo, s51, v9
	v_med3_i32 v6, v6, s6, 0x7f
	v_add_co_ci_u32_e64 v4, s0, 0, v4, s0
	s_addc_u32 s3, s3, 0
	s_or_b32 s5, vcc_lo, s5
	global_store_b8 v[7:8], v6, off
	s_and_not1_b32 exec_lo, exec_lo, s5
	s_cbranch_execz .LBB5_97
.LBB5_94:                               ; =>This Inner Loop Header: Depth=1
	global_load_u16 v6, v[3:4], off
	s_mov_b32 s0, exec_lo
	s_waitcnt vmcnt(0)
	v_lshlrev_b32_e32 v6, 16, v6
	s_delay_alu instid0(VALU_DEP_1) | instskip(NEXT) | instid1(VALU_DEP_1)
	v_mul_f32_e32 v6, v14, v6
	v_rndne_f32_e32 v7, v6
	v_bfrev_b32_e32 v6, -2
	s_delay_alu instid0(VALU_DEP_2)
	v_cmpx_nle_f32_e32 0x4f000000, v7
	s_cbranch_execz .LBB5_93
; %bb.95:                               ;   in Loop: Header=BB5_94 Depth=1
	v_bfrev_b32_e32 v6, 1
	s_mov_b32 s7, exec_lo
	v_cmpx_nge_f32_e32 0xcf000000, v7
	s_cbranch_execz .LBB5_92
; %bb.96:                               ;   in Loop: Header=BB5_94 Depth=1
	v_cvt_i32_f32_e32 v6, v7
	s_branch .LBB5_92
.LBB5_97:
	s_set_inst_prefetch_distance 0x2
	s_or_b32 exec_lo, exec_lo, s1
	s_mov_b32 s0, 0
.LBB5_98:
	s_delay_alu instid0(SALU_CYCLE_1)
	s_and_b32 vcc_lo, exec_lo, s0
	s_cbranch_vccz .LBB5_171
; %bb.99:
	s_ashr_i32 s44, s50, 4
	s_mov_b32 s0, exec_lo
	v_cmpx_gt_i32_e64 s44, v0
	s_cbranch_execz .LBB5_171
; %bb.100:
	v_cvt_f32_u32_e32 v1, s31
	s_sub_i32 s0, 0, s31
	v_add_nc_u32_e32 v3, s31, v0
	s_cmp_eq_u32 s31, 1
	s_mov_b32 s46, 0
	v_rcp_iflag_f32_e32 v1, v1
	s_delay_alu instid0(VALU_DEP_1) | instskip(SKIP_3) | instid1(VALU_DEP_1)
	v_cmp_gt_i32_e32 vcc_lo, s44, v3
	v_max_i32_e32 v4, s44, v3
	s_waitcnt_depctr 0xfff
	v_mul_f32_e32 v1, 0x4f7ffffe, v1
	v_cvt_u32_f32_e32 v1, v1
	s_delay_alu instid0(VALU_DEP_1) | instskip(SKIP_1) | instid1(VALU_DEP_1)
	v_mul_lo_u32 v2, s0, v1
	v_add_co_ci_u32_e64 v3, s0, s31, v0, vcc_lo
	v_sub_nc_u32_e32 v3, v4, v3
	s_delay_alu instid0(VALU_DEP_3) | instskip(NEXT) | instid1(VALU_DEP_1)
	v_mul_hi_u32 v2, v1, v2
	v_add_nc_u32_e32 v1, v1, v2
	s_delay_alu instid0(VALU_DEP_1) | instskip(NEXT) | instid1(VALU_DEP_1)
	v_mul_hi_u32 v1, v3, v1
	v_mul_lo_u32 v2, v1, s31
	s_delay_alu instid0(VALU_DEP_1) | instskip(SKIP_1) | instid1(VALU_DEP_2)
	v_sub_nc_u32_e32 v2, v3, v2
	v_add_nc_u32_e32 v3, 1, v1
	v_subrev_nc_u32_e32 v4, s31, v2
	v_cmp_le_u32_e64 s0, s31, v2
	s_delay_alu instid0(VALU_DEP_1) | instskip(NEXT) | instid1(VALU_DEP_3)
	v_cndmask_b32_e64 v1, v1, v3, s0
	v_cndmask_b32_e64 v2, v2, v4, s0
	s_delay_alu instid0(VALU_DEP_2) | instskip(NEXT) | instid1(VALU_DEP_2)
	v_add_nc_u32_e32 v3, 1, v1
	v_cmp_le_u32_e64 s0, s31, v2
	s_delay_alu instid0(VALU_DEP_1) | instskip(SKIP_1) | instid1(VALU_DEP_1)
	v_cndmask_b32_e64 v1, v1, v3, s0
	s_cselect_b32 s0, -1, 0
	v_add_co_ci_u32_e32 v5, vcc_lo, 1, v1, vcc_lo
	s_delay_alu instid0(VALU_DEP_1)
	v_cmp_lt_u32_e32 vcc_lo, 1, v5
	s_and_b32 s1, vcc_lo, s0
	s_mov_b32 s0, -1
	s_and_saveexec_b32 s45, s1
	s_cbranch_execz .LBB5_104
; %bb.101:
	v_dual_mov_b32 v2, 0 :: v_dual_add_nc_u32 v1, 1, v0
	v_and_b32_e32 v6, -2, v5
	s_mov_b32 s47, s33
	s_movk_i32 s50, 0xff80
	s_delay_alu instid0(VALU_DEP_2) | instskip(NEXT) | instid1(VALU_DEP_2)
	v_dual_mov_b32 v4, v1 :: v_dual_mov_b32 v3, v0
	v_mov_b32_e32 v7, v6
.LBB5_102:                              ; =>This Inner Loop Header: Depth=1
	s_delay_alu instid0(VALU_DEP_2) | instskip(NEXT) | instid1(VALU_DEP_2)
	v_dual_mov_b32 v1, v3 :: v_dual_mov_b32 v8, v4
	v_add_nc_u32_e32 v7, -2, v7
	v_dual_mov_b32 v9, v2 :: v_dual_add_nc_u32 v4, 2, v4
	s_delay_alu instid0(VALU_DEP_3) | instskip(SKIP_1) | instid1(VALU_DEP_4)
	v_lshlrev_b64 v[10:11], 5, v[1:2]
	v_lshlrev_b64 v[15:16], 4, v[1:2]
	v_cmp_eq_u32_e32 vcc_lo, 0, v7
	s_delay_alu instid0(VALU_DEP_4) | instskip(SKIP_4) | instid1(VALU_DEP_4)
	v_lshlrev_b64 v[12:13], 5, v[8:9]
	v_lshlrev_b64 v[8:9], 4, v[8:9]
	s_or_b32 s46, vcc_lo, s46
	v_add_co_u32 v23, vcc_lo, s48, v10
	v_add_co_ci_u32_e32 v24, vcc_lo, s49, v11, vcc_lo
	v_add_co_u32 v12, vcc_lo, s48, v12
	v_add_co_ci_u32_e32 v13, vcc_lo, s49, v13, vcc_lo
	v_add_co_u32 v27, vcc_lo, s42, v15
	v_add_co_ci_u32_e32 v28, vcc_lo, s43, v16, vcc_lo
	v_add_co_u32 v29, vcc_lo, s42, v8
	v_add_co_ci_u32_e32 v30, vcc_lo, s43, v9, vcc_lo
	s_clause 0x3
	global_load_b128 v[8:11], v[23:24], off
	global_load_b128 v[15:18], v[12:13], off
	global_load_b128 v[19:22], v[12:13], off offset:16
	global_load_b128 v[23:26], v[23:24], off offset:16
	s_waitcnt vmcnt(3)
	v_lshlrev_b32_e32 v32, 16, v10
	v_and_b32_e32 v10, 0xffff0000, v10
	v_lshlrev_b32_e32 v1, 16, v8
	s_waitcnt vmcnt(0)
	v_lshlrev_b32_e32 v40, 16, v25
	v_lshlrev_b32_e32 v37, 16, v19
	;; [unrolled: 1-line block ×3, first 2 shown]
	v_mul_f32_e32 v10, v14, v10
	v_dual_mul_f32 v1, v14, v1 :: v_dual_lshlrev_b32 v12, 16, v15
	v_mul_f32_e32 v40, v14, v40
	v_dual_mul_f32 v37, v14, v37 :: v_dual_lshlrev_b32 v36, 16, v23
	s_delay_alu instid0(VALU_DEP_3) | instskip(NEXT) | instid1(VALU_DEP_4)
	v_dual_mul_f32 v12, v14, v12 :: v_dual_lshlrev_b32 v33, 16, v17
	v_rndne_f32_e32 v1, v1
	s_delay_alu instid0(VALU_DEP_3) | instskip(NEXT) | instid1(VALU_DEP_3)
	v_mul_f32_e32 v36, v14, v36
	v_dual_mul_f32 v33, v14, v33 :: v_dual_lshlrev_b32 v34, 16, v11
	v_lshlrev_b32_e32 v31, 16, v16
	v_rndne_f32_e32 v12, v12
	v_cmp_nge_f32_e32 vcc_lo, 0xcf000000, v1
	s_delay_alu instid0(VALU_DEP_4) | instskip(NEXT) | instid1(VALU_DEP_4)
	v_mul_f32_e32 v34, v14, v34
	v_dual_mul_f32 v31, v14, v31 :: v_dual_and_b32 v16, 0xffff0000, v16
	v_and_b32_e32 v13, 0xffff0000, v15
	v_dual_cndmask_b32 v44, 0xcf000000, v1 :: v_dual_lshlrev_b32 v43, 16, v22
	s_delay_alu instid0(VALU_DEP_3) | instskip(NEXT) | instid1(VALU_DEP_3)
	v_mul_f32_e32 v16, v14, v16
	v_dual_mul_f32 v13, v14, v13 :: v_dual_and_b32 v8, 0xffff0000, v8
	v_add_nc_u32_e32 v3, 2, v3
	v_cmp_nge_f32_e32 vcc_lo, 0xcf000000, v12
	v_dual_mul_f32 v32, v14, v32 :: v_dual_lshlrev_b32 v15, 16, v9
	s_delay_alu instid0(VALU_DEP_4) | instskip(SKIP_2) | instid1(VALU_DEP_4)
	v_mul_f32_e32 v8, v14, v8
	v_rndne_f32_e32 v13, v13
	v_cndmask_b32_e32 v45, 0xcf000000, v12, vcc_lo
	v_mul_f32_e32 v15, v14, v15
	v_and_b32_e32 v25, 0xffff0000, v25
	v_rndne_f32_e32 v8, v8
	v_rndne_f32_e32 v31, v31
	;; [unrolled: 1-line block ×5, first 2 shown]
	v_cmp_nge_f32_e32 vcc_lo, 0xcf000000, v8
	v_lshlrev_b32_e32 v41, 16, v21
	v_and_b32_e32 v21, 0xffff0000, v21
	v_and_b32_e32 v22, 0xffff0000, v22
	v_rndne_f32_e32 v33, v33
	v_cndmask_b32_e32 v46, 0xcf000000, v8, vcc_lo
	v_dual_mul_f32 v41, v14, v41 :: v_dual_and_b32 v26, 0xffff0000, v26
	v_mul_f32_e32 v21, v14, v21
	v_dual_mul_f32 v22, v14, v22 :: v_dual_and_b32 v19, 0xffff0000, v19
	s_delay_alu instid0(VALU_DEP_3) | instskip(NEXT) | instid1(VALU_DEP_2)
	v_dual_mul_f32 v26, v14, v26 :: v_dual_lshlrev_b32 v39, 16, v20
	v_dual_mul_f32 v19, v14, v19 :: v_dual_and_b32 v20, 0xffff0000, v20
	v_lshlrev_b32_e32 v35, 16, v18
	v_cmp_nge_f32_e32 vcc_lo, 0xcf000000, v13
	v_rndne_f32_e32 v10, v10
	s_delay_alu instid0(VALU_DEP_4) | instskip(NEXT) | instid1(VALU_DEP_4)
	v_mul_f32_e32 v20, v14, v20
	v_dual_mul_f32 v35, v14, v35 :: v_dual_lshlrev_b32 v38, 16, v24
	v_and_b32_e32 v17, 0xffff0000, v17
	v_cndmask_b32_e32 v47, 0xcf000000, v13, vcc_lo
	v_cmp_nge_f32_e32 vcc_lo, 0xcf000000, v15
	s_delay_alu instid0(VALU_DEP_4) | instskip(NEXT) | instid1(VALU_DEP_4)
	v_mul_f32_e32 v38, v14, v38
	v_dual_mul_f32 v17, v14, v17 :: v_dual_and_b32 v18, 0xffff0000, v18
	v_and_b32_e32 v9, 0xffff0000, v9
	v_dual_mul_f32 v25, v14, v25 :: v_dual_cndmask_b32 v48, 0xcf000000, v15
	s_delay_alu instid0(VALU_DEP_3) | instskip(SKIP_1) | instid1(VALU_DEP_4)
	v_mul_f32_e32 v18, v14, v18
	v_cmp_nge_f32_e32 vcc_lo, 0xcf000000, v31
	v_mul_f32_e32 v9, v14, v9
	v_rndne_f32_e32 v17, v17
	v_and_b32_e32 v24, 0xffff0000, v24
	v_and_b32_e32 v11, 0xffff0000, v11
	v_cndmask_b32_e32 v49, 0xcf000000, v31, vcc_lo
	v_rndne_f32_e32 v9, v9
	v_rndne_f32_e32 v34, v34
	v_mul_f32_e32 v24, v14, v24
	v_mul_f32_e32 v11, v14, v11
	v_rndne_f32_e32 v35, v35
	v_cmp_nge_f32_e32 vcc_lo, 0xcf000000, v9
	v_mul_f32_e32 v43, v14, v43
	v_rndne_f32_e32 v18, v18
	v_rndne_f32_e32 v11, v11
	v_dual_mul_f32 v39, v14, v39 :: v_dual_cndmask_b32 v50, 0xcf000000, v9
	v_cmp_nge_f32_e32 vcc_lo, 0xcf000000, v16
	v_dual_mul_f32 v42, v14, v42 :: v_dual_and_b32 v23, 0xffff0000, v23
	v_rndne_f32_e32 v36, v36
	v_rndne_f32_e32 v37, v37
	v_cndmask_b32_e32 v51, 0xcf000000, v16, vcc_lo
	v_cmp_nge_f32_e32 vcc_lo, 0xcf000000, v32
	v_mul_f32_e32 v23, v14, v23
	v_rndne_f32_e32 v19, v19
	v_rndne_f32_e32 v38, v38
	;; [unrolled: 1-line block ×3, first 2 shown]
	v_cndmask_b32_e32 v52, 0xcf000000, v32, vcc_lo
	v_cmp_nge_f32_e32 vcc_lo, 0xcf000000, v33
	v_rndne_f32_e32 v23, v23
	v_rndne_f32_e32 v24, v24
	;; [unrolled: 1-line block ×4, first 2 shown]
	v_cndmask_b32_e32 v53, 0xcf000000, v33, vcc_lo
	v_cmp_nge_f32_e32 vcc_lo, 0xcf000000, v10
	v_rndne_f32_e32 v41, v41
	v_rndne_f32_e32 v25, v25
	;; [unrolled: 1-line block ×4, first 2 shown]
	v_cndmask_b32_e32 v54, 0xcf000000, v10, vcc_lo
	v_cmp_nge_f32_e32 vcc_lo, 0xcf000000, v17
	v_cmp_nle_f32_e64 s1, 0x4f000000, v8
	v_cvt_i32_f32_e32 v8, v49
	v_cmp_nle_f32_e64 s2, 0x4f000000, v31
	v_cmp_nle_f32_e64 s3, 0x4f000000, v15
	v_cndmask_b32_e32 v55, 0xcf000000, v17, vcc_lo
	v_cmp_nge_f32_e32 vcc_lo, 0xcf000000, v34
	v_cvt_i32_f32_e32 v15, v51
	v_cmp_nle_f32_e64 s4, 0x4f000000, v16
	v_rndne_f32_e32 v43, v43
	v_cndmask_b32_e64 v8, 0x7fffffff, v8, s2
	v_cndmask_b32_e32 v56, 0xcf000000, v34, vcc_lo
	v_cmp_nge_f32_e32 vcc_lo, 0xcf000000, v35
	v_cndmask_b32_e64 v15, 0x7fffffff, v15, s4
	v_rndne_f32_e32 v26, v26
	v_cmp_nle_f32_e64 s17, 0x4f000000, v23
	v_cmp_nle_f32_e64 s18, 0x4f000000, v39
	v_cndmask_b32_e32 v57, 0xcf000000, v35, vcc_lo
	v_cmp_nge_f32_e32 vcc_lo, 0xcf000000, v11
	v_cmp_nle_f32_e64 s19, 0x4f000000, v38
	v_cmp_nle_f32_e64 s20, 0x4f000000, v20
	v_add_nc_u32_e32 v8, s47, v8
	v_add_nc_u32_e32 v15, s47, v15
	v_cndmask_b32_e32 v58, 0xcf000000, v11, vcc_lo
	v_cmp_nge_f32_e32 vcc_lo, 0xcf000000, v18
	v_rndne_f32_e32 v22, v22
	v_med3_i32 v8, v8, s50, 0x7f
	v_med3_i32 v15, v15, s50, 0x7f
	v_cvt_i32_f32_e32 v45, v45
	v_cndmask_b32_e32 v59, 0xcf000000, v18, vcc_lo
	v_cmp_nge_f32_e32 vcc_lo, 0xcf000000, v36
	v_and_b32_e32 v8, 0xff, v8
	v_lshlrev_b16 v15, 8, v15
	v_cmp_nle_f32_e64 s0, 0x4f000000, v13
	v_cmp_nle_f32_e64 s5, 0x4f000000, v9
	v_cndmask_b32_e32 v60, 0xcf000000, v36, vcc_lo
	v_cmp_nge_f32_e32 vcc_lo, 0xcf000000, v37
	v_or_b32_e32 v8, v8, v15
	v_cvt_i32_f32_e32 v9, v53
	v_cmp_nle_f32_e64 s6, 0x4f000000, v33
	v_cmp_nle_f32_e64 s7, 0x4f000000, v32
	v_cndmask_b32_e32 v61, 0xcf000000, v37, vcc_lo
	v_cmp_nge_f32_e32 vcc_lo, 0xcf000000, v23
	v_cvt_i32_f32_e32 v32, v55
	v_cmp_nle_f32_e64 s8, 0x4f000000, v17
	v_cmp_nle_f32_e64 s9, 0x4f000000, v10
	v_cvt_i32_f32_e32 v10, v57
	v_cndmask_b32_e32 v62, 0xcf000000, v23, vcc_lo
	v_cmp_nge_f32_e32 vcc_lo, 0xcf000000, v19
	v_cmp_nle_f32_e64 s10, 0x4f000000, v35
	v_cmp_nle_f32_e64 s11, 0x4f000000, v34
	v_cvt_i32_f32_e32 v34, v59
	v_cmp_nle_f32_e64 s12, 0x4f000000, v18
	v_cndmask_b32_e32 v63, 0xcf000000, v19, vcc_lo
	v_cmp_nge_f32_e32 vcc_lo, 0xcf000000, v38
	v_cmp_nle_f32_e64 s13, 0x4f000000, v11
	v_cvt_i32_f32_e32 v11, v61
	v_cmp_nle_f32_e64 s14, 0x4f000000, v37
	v_cmp_nle_f32_e64 s15, 0x4f000000, v36
	v_cndmask_b32_e32 v64, 0xcf000000, v38, vcc_lo
	v_cmp_nge_f32_e32 vcc_lo, 0xcf000000, v39
	v_cvt_i32_f32_e32 v36, v63
	v_cmp_nle_f32_e64 s16, 0x4f000000, v19
	v_cmp_nle_f32_e64 s21, 0x4f000000, v24
	;; [unrolled: 1-line block ×3, first 2 shown]
	v_cndmask_b32_e32 v65, 0xcf000000, v39, vcc_lo
	v_cmp_nge_f32_e32 vcc_lo, 0xcf000000, v24
	v_cmp_nle_f32_e64 s23, 0x4f000000, v40
	v_cmp_nle_f32_e64 s24, 0x4f000000, v21
	;; [unrolled: 1-line block ×3, first 2 shown]
	v_cvt_i32_f32_e32 v23, v65
	v_cndmask_b32_e32 v66, 0xcf000000, v24, vcc_lo
	v_cmp_nge_f32_e32 vcc_lo, 0xcf000000, v20
	v_cmp_nle_f32_e64 s26, 0x4f000000, v43
	v_cmp_nle_f32_e64 s27, 0x4f000000, v42
	v_cndmask_b32_e64 v23, 0x7fffffff, v23, s18
	v_cmp_nle_f32_e64 s28, 0x4f000000, v22
	v_cndmask_b32_e32 v67, 0xcf000000, v20, vcc_lo
	v_cmp_nge_f32_e32 vcc_lo, 0xcf000000, v40
	v_cmp_nle_f32_e64 s30, 0x4f000000, v1
	v_add_nc_u32_e32 v23, s47, v23
	v_lshlrev_b32_e32 v8, 16, v8
	v_cvt_i32_f32_e32 v38, v67
	v_cndmask_b32_e32 v68, 0xcf000000, v40, vcc_lo
	v_cmp_nge_f32_e32 vcc_lo, 0xcf000000, v41
	v_med3_i32 v23, v23, s50, 0x7f
	v_cmp_nle_f32_e64 s29, 0x4f000000, v26
	v_cndmask_b32_e64 v38, 0x7fffffff, v38, s20
	v_cndmask_b32_e64 v9, 0x7fffffff, v9, s6
	v_cndmask_b32_e32 v69, 0xcf000000, v41, vcc_lo
	v_cmp_nge_f32_e32 vcc_lo, 0xcf000000, v25
	v_and_b32_e32 v23, 0xff, v23
	v_add_nc_u32_e32 v38, s47, v38
	v_cndmask_b32_e64 v32, 0x7fffffff, v32, s8
	v_cvt_i32_f32_e32 v24, v69
	v_cndmask_b32_e32 v70, 0xcf000000, v25, vcc_lo
	v_cmp_nge_f32_e32 vcc_lo, 0xcf000000, v21
	v_med3_i32 v38, v38, s50, 0x7f
	v_cndmask_b32_e64 v10, 0x7fffffff, v10, s10
	v_cndmask_b32_e64 v34, 0x7fffffff, v34, s12
	;; [unrolled: 1-line block ×3, first 2 shown]
	v_cndmask_b32_e32 v71, 0xcf000000, v21, vcc_lo
	v_cmp_nge_f32_e32 vcc_lo, 0xcf000000, v42
	v_lshlrev_b16 v38, 8, v38
	v_cndmask_b32_e64 v36, 0x7fffffff, v36, s16
	v_cndmask_b32_e64 v24, 0x7fffffff, v24, s22
	v_cvt_i32_f32_e32 v40, v71
	v_cndmask_b32_e32 v72, 0xcf000000, v42, vcc_lo
	v_cmp_nge_f32_e32 vcc_lo, 0xcf000000, v43
	v_or_b32_e32 v15, v23, v38
	v_cvt_i32_f32_e32 v13, v46
	v_cndmask_b32_e64 v40, 0x7fffffff, v40, s24
	v_cvt_i32_f32_e32 v31, v48
	v_cndmask_b32_e32 v73, 0xcf000000, v43, vcc_lo
	v_cmp_nge_f32_e32 vcc_lo, 0xcf000000, v26
	v_cvt_i32_f32_e32 v16, v50
	v_cvt_i32_f32_e32 v33, v52
	;; [unrolled: 1-line block ×4, first 2 shown]
	v_cndmask_b32_e32 v74, 0xcf000000, v26, vcc_lo
	v_cmp_nge_f32_e32 vcc_lo, 0xcf000000, v22
	v_cvt_i32_f32_e32 v18, v58
	v_cvt_i32_f32_e32 v37, v60
	v_cndmask_b32_e64 v25, 0x7fffffff, v25, s26
	v_cvt_i32_f32_e32 v19, v62
	v_cndmask_b32_e32 v75, 0xcf000000, v22, vcc_lo
	v_cmp_nle_f32_e32 vcc_lo, 0x4f000000, v12
	v_cvt_i32_f32_e32 v12, v44
	v_cvt_i32_f32_e32 v44, v47
	;; [unrolled: 1-line block ×4, first 2 shown]
	v_add_nc_u32_e32 v9, s47, v9
	v_cndmask_b32_e64 v1, 0x7fffffff, v12, s30
	v_cndmask_b32_e32 v12, 0x7fffffff, v45, vcc_lo
	v_cndmask_b32_e64 v26, 0x7fffffff, v44, s0
	v_cndmask_b32_e64 v42, 0x7fffffff, v42, s28
	v_add_nc_u32_e32 v32, s47, v32
	v_add_nc_u32_e32 v10, s47, v10
	;; [unrolled: 1-line block ×11, first 2 shown]
	v_lshlrev_b32_e32 v15, 16, v15
	v_cvt_i32_f32_e32 v17, v54
	v_cndmask_b32_e64 v13, 0x7fffffff, v13, s1
	v_cndmask_b32_e64 v31, 0x7fffffff, v31, s3
	;; [unrolled: 1-line block ×10, first 2 shown]
	v_add_nc_u32_e32 v1, s33, v1
	v_med3_i32 v12, v12, s50, 0x7f
	v_med3_i32 v26, v26, s50, 0x7f
	;; [unrolled: 1-line block ×12, first 2 shown]
	v_cvt_i32_f32_e32 v20, v66
	v_cvt_i32_f32_e32 v41, v68
	v_add_nc_u32_e32 v13, s33, v13
	v_cvt_i32_f32_e32 v21, v70
	v_add_nc_u32_e32 v31, s33, v31
	;; [unrolled: 2-line block ×4, first 2 shown]
	v_add_nc_u32_e32 v17, s33, v17
	v_add_nc_u32_e32 v35, s33, v35
	;; [unrolled: 1-line block ×6, first 2 shown]
	v_med3_i32 v1, v1, s50, 0x7f
	v_and_b32_e32 v12, 0xff, v12
	v_lshlrev_b16 v26, 8, v26
	v_and_b32_e32 v9, 0xff, v9
	v_lshlrev_b16 v32, 8, v32
	;; [unrolled: 2-line block ×6, first 2 shown]
	v_cndmask_b32_e64 v20, 0x7fffffff, v20, s21
	v_cndmask_b32_e64 v41, 0x7fffffff, v41, s23
	v_med3_i32 v13, v13, s50, 0x7f
	v_cndmask_b32_e64 v21, 0x7fffffff, v21, s25
	v_med3_i32 v31, v31, s50, 0x7f
	;; [unrolled: 2-line block ×4, first 2 shown]
	v_med3_i32 v17, v17, s50, 0x7f
	v_med3_i32 v35, v35, s50, 0x7f
	;; [unrolled: 1-line block ×6, first 2 shown]
	s_clause 0xa
	global_store_b8 v[27:28], v1, off
	global_store_b8 v[27:28], v13, off offset:1
	global_store_b8 v[27:28], v31, off offset:2
	;; [unrolled: 1-line block ×10, first 2 shown]
	v_or_b32_e32 v1, v12, v26
	v_or_b32_e32 v9, v9, v32
	;; [unrolled: 1-line block ×6, first 2 shown]
	v_add_nc_u32_e32 v20, s33, v20
	v_add_nc_u32_e32 v41, s33, v41
	;; [unrolled: 1-line block ×4, first 2 shown]
	v_lshlrev_b32_e32 v17, 16, v10
	v_add_nc_u32_e32 v22, s33, v22
	v_and_b32_e32 v12, 0xffff, v12
	v_lshlrev_b32_e32 v13, 16, v13
	v_and_b32_e32 v16, 0xffff, v11
	v_and_b32_e32 v9, 0xffff, v9
	;; [unrolled: 1-line block ×3, first 2 shown]
	v_med3_i32 v20, v20, s50, 0x7f
	v_med3_i32 v41, v41, s50, 0x7f
	;; [unrolled: 1-line block ×5, first 2 shown]
	v_or_b32_e32 v11, v12, v13
	v_or_b32_e32 v10, v16, v15
	;; [unrolled: 1-line block ×4, first 2 shown]
	s_clause 0x5
	global_store_b8 v[27:28], v20, off offset:11
	global_store_b8 v[27:28], v41, off offset:12
	;; [unrolled: 1-line block ×5, first 2 shown]
	global_store_b128 v[29:30], v[8:11], off
	s_and_not1_b32 exec_lo, exec_lo, s46
	s_cbranch_execnz .LBB5_102
; %bb.103:
	s_or_b32 exec_lo, exec_lo, s46
	v_cmp_ne_u32_e32 vcc_lo, v5, v6
	v_add_nc_u32_e32 v0, v0, v6
	s_or_not1_b32 s0, vcc_lo, exec_lo
.LBB5_104:
	s_or_b32 exec_lo, exec_lo, s45
	s_delay_alu instid0(SALU_CYCLE_1)
	s_and_b32 exec_lo, exec_lo, s0
	s_cbranch_execz .LBB5_171
; %bb.105:
	v_mov_b32_e32 v1, 0
	s_add_u32 s0, s38, s40
	s_addc_u32 s2, s39, s41
	s_lshl_b32 s1, s31, 4
	s_add_u32 s3, s36, s34
	v_lshlrev_b64 v[2:3], 4, v[0:1]
	v_lshlrev_b64 v[4:5], 5, v[0:1]
	s_addc_u32 s4, s37, s35
	s_delay_alu instid0(VALU_DEP_2) | instskip(NEXT) | instid1(VALU_DEP_3)
	v_add_co_u32 v9, vcc_lo, s0, v2
	v_add_co_ci_u32_e32 v10, vcc_lo, s2, v3, vcc_lo
	s_delay_alu instid0(VALU_DEP_3) | instskip(NEXT) | instid1(VALU_DEP_4)
	v_add_co_u32 v11, vcc_lo, s3, v4
	v_add_co_ci_u32_e32 v12, vcc_lo, s4, v5, vcc_lo
	s_mov_b32 s2, 0
	s_lshl_b32 s3, s31, 5
	s_movk_i32 s4, 0xff80
	s_branch .LBB5_108
.LBB5_106:                              ;   in Loop: Header=BB5_108 Depth=1
	s_or_b32 exec_lo, exec_lo, s5
.LBB5_107:                              ;   in Loop: Header=BB5_108 Depth=1
	s_delay_alu instid0(SALU_CYCLE_1)
	s_or_b32 exec_lo, exec_lo, s0
	v_add_nc_u32_e32 v4, s33, v22
	v_add_nc_u32_e32 v19, s33, v19
	;; [unrolled: 1-line block ×5, first 2 shown]
	v_med3_i32 v4, v4, s4, 0x7f
	v_med3_i32 v19, v19, s4, 0x7f
	;; [unrolled: 1-line block ×4, first 2 shown]
	v_add_nc_u32_e32 v2, s33, v2
	v_add_nc_u32_e32 v20, s33, v20
	v_add_nc_u32_e32 v1, s33, v1
	v_add_nc_u32_e32 v18, s33, v18
	v_add_nc_u32_e32 v7, s33, v7
	v_add_nc_u32_e32 v17, s33, v17
	v_add_nc_u32_e32 v6, s33, v6
	v_add_nc_u32_e32 v5, s33, v5
	v_add_nc_u32_e32 v16, s33, v16
	v_lshlrev_b16 v3, 8, v3
	v_and_b32_e32 v4, 0xff, v4
	v_lshlrev_b16 v19, 8, v19
	v_and_b32_e32 v8, 0xff, v8
	v_add_nc_u32_e32 v13, s33, v13
	v_add_nc_u32_e32 v15, s33, v15
	v_med3_i32 v21, v21, s4, 0x7f
	v_med3_i32 v2, v2, s4, 0x7f
	;; [unrolled: 1-line block ×10, first 2 shown]
	v_or_b32_e32 v3, v4, v3
	v_or_b32_e32 v4, v8, v19
	v_med3_i32 v8, v13, s4, 0x7f
	v_med3_i32 v13, v15, s4, 0x7f
	v_lshlrev_b16 v21, 8, v21
	v_and_b32_e32 v2, 0xff, v2
	v_and_b32_e32 v15, 0xffff, v4
	v_lshlrev_b16 v4, 8, v20
	v_and_b32_e32 v1, 0xff, v1
	v_lshlrev_b16 v17, 8, v17
	;; [unrolled: 2-line block ×5, first 2 shown]
	v_and_b32_e32 v16, 0xff, v16
	v_or_b32_e32 v2, v2, v21
	v_or_b32_e32 v1, v1, v4
	;; [unrolled: 1-line block ×6, first 2 shown]
	v_and_b32_e32 v2, 0xffff, v2
	v_lshlrev_b32_e32 v3, 16, v3
	v_lshlrev_b32_e32 v1, 16, v1
	v_and_b32_e32 v8, 0xffff, v4
	v_lshlrev_b32_e32 v6, 16, v6
	v_and_b32_e32 v7, 0xffff, v7
	v_lshlrev_b32_e32 v5, 16, v5
	v_or_b32_e32 v4, v2, v3
	v_or_b32_e32 v3, v15, v1
	;; [unrolled: 1-line block ×3, first 2 shown]
	v_add_nc_u32_e32 v0, s31, v0
	v_or_b32_e32 v1, v7, v5
	v_add_co_u32 v11, s0, v11, s3
	s_delay_alu instid0(VALU_DEP_1)
	v_add_co_ci_u32_e64 v12, s0, 0, v12, s0
	global_store_b128 v[9:10], v[1:4], off
	v_add_co_u32 v9, vcc_lo, v9, s1
	v_add_co_ci_u32_e32 v10, vcc_lo, 0, v10, vcc_lo
	v_cmp_le_i32_e32 vcc_lo, s44, v0
	s_or_b32 s2, vcc_lo, s2
	s_delay_alu instid0(SALU_CYCLE_1)
	s_and_not1_b32 exec_lo, exec_lo, s2
	s_cbranch_execz .LBB5_171
.LBB5_108:                              ; =>This Inner Loop Header: Depth=1
	s_clause 0x1
	global_load_b128 v[5:8], v[11:12], off
	global_load_b128 v[1:4], v[11:12], off offset:16
	v_bfrev_b32_e32 v15, -2
	s_mov_b32 s0, exec_lo
	s_waitcnt vmcnt(1)
	v_lshlrev_b32_e32 v13, 16, v5
	s_delay_alu instid0(VALU_DEP_1) | instskip(NEXT) | instid1(VALU_DEP_1)
	v_mul_f32_e32 v13, v14, v13
	v_rndne_f32_e32 v16, v13
	v_bfrev_b32_e32 v13, -2
	s_delay_alu instid0(VALU_DEP_2)
	v_cmpx_nle_f32_e32 0x4f000000, v16
	s_cbranch_execz .LBB5_112
; %bb.109:                              ;   in Loop: Header=BB5_108 Depth=1
	v_bfrev_b32_e32 v15, 1
	s_mov_b32 s5, exec_lo
	v_cmpx_nge_f32_e32 0xcf000000, v16
; %bb.110:                              ;   in Loop: Header=BB5_108 Depth=1
	v_cvt_i32_f32_e32 v15, v16
; %bb.111:                              ;   in Loop: Header=BB5_108 Depth=1
	s_or_b32 exec_lo, exec_lo, s5
.LBB5_112:                              ;   in Loop: Header=BB5_108 Depth=1
	s_delay_alu instid0(SALU_CYCLE_1) | instskip(SKIP_2) | instid1(VALU_DEP_1)
	s_or_b32 exec_lo, exec_lo, s0
	v_and_b32_e32 v5, 0xffff0000, v5
	s_mov_b32 s0, exec_lo
	v_mul_f32_e32 v5, v14, v5
	s_delay_alu instid0(VALU_DEP_1) | instskip(NEXT) | instid1(VALU_DEP_1)
	v_rndne_f32_e32 v5, v5
	v_cmpx_nle_f32_e32 0x4f000000, v5
	s_cbranch_execz .LBB5_116
; %bb.113:                              ;   in Loop: Header=BB5_108 Depth=1
	v_bfrev_b32_e32 v13, 1
	s_mov_b32 s5, exec_lo
	v_cmpx_nge_f32_e32 0xcf000000, v5
; %bb.114:                              ;   in Loop: Header=BB5_108 Depth=1
	v_cvt_i32_f32_e32 v13, v5
; %bb.115:                              ;   in Loop: Header=BB5_108 Depth=1
	s_or_b32 exec_lo, exec_lo, s5
.LBB5_116:                              ;   in Loop: Header=BB5_108 Depth=1
	s_delay_alu instid0(SALU_CYCLE_1) | instskip(SKIP_3) | instid1(VALU_DEP_2)
	s_or_b32 exec_lo, exec_lo, s0
	v_lshlrev_b32_e32 v5, 16, v6
	v_bfrev_b32_e32 v16, -2
	s_mov_b32 s0, exec_lo
	v_mul_f32_e32 v5, v14, v5
	s_delay_alu instid0(VALU_DEP_1) | instskip(SKIP_1) | instid1(VALU_DEP_2)
	v_rndne_f32_e32 v17, v5
	v_bfrev_b32_e32 v5, -2
	v_cmpx_nle_f32_e32 0x4f000000, v17
	s_cbranch_execz .LBB5_120
; %bb.117:                              ;   in Loop: Header=BB5_108 Depth=1
	v_bfrev_b32_e32 v16, 1
	s_mov_b32 s5, exec_lo
	v_cmpx_nge_f32_e32 0xcf000000, v17
; %bb.118:                              ;   in Loop: Header=BB5_108 Depth=1
	v_cvt_i32_f32_e32 v16, v17
; %bb.119:                              ;   in Loop: Header=BB5_108 Depth=1
	s_or_b32 exec_lo, exec_lo, s5
.LBB5_120:                              ;   in Loop: Header=BB5_108 Depth=1
	s_delay_alu instid0(SALU_CYCLE_1) | instskip(SKIP_2) | instid1(VALU_DEP_1)
	s_or_b32 exec_lo, exec_lo, s0
	v_and_b32_e32 v6, 0xffff0000, v6
	s_mov_b32 s0, exec_lo
	v_mul_f32_e32 v6, v14, v6
	s_delay_alu instid0(VALU_DEP_1) | instskip(NEXT) | instid1(VALU_DEP_1)
	v_rndne_f32_e32 v6, v6
	v_cmpx_nle_f32_e32 0x4f000000, v6
	s_cbranch_execz .LBB5_124
; %bb.121:                              ;   in Loop: Header=BB5_108 Depth=1
	v_bfrev_b32_e32 v5, 1
	s_mov_b32 s5, exec_lo
	v_cmpx_nge_f32_e32 0xcf000000, v6
; %bb.122:                              ;   in Loop: Header=BB5_108 Depth=1
	v_cvt_i32_f32_e32 v5, v6
; %bb.123:                              ;   in Loop: Header=BB5_108 Depth=1
	s_or_b32 exec_lo, exec_lo, s5
.LBB5_124:                              ;   in Loop: Header=BB5_108 Depth=1
	s_delay_alu instid0(SALU_CYCLE_1) | instskip(SKIP_3) | instid1(VALU_DEP_2)
	s_or_b32 exec_lo, exec_lo, s0
	v_lshlrev_b32_e32 v6, 16, v7
	v_bfrev_b32_e32 v17, -2
	s_mov_b32 s0, exec_lo
	v_mul_f32_e32 v6, v14, v6
	s_delay_alu instid0(VALU_DEP_1) | instskip(SKIP_1) | instid1(VALU_DEP_2)
	v_rndne_f32_e32 v18, v6
	v_bfrev_b32_e32 v6, -2
	v_cmpx_nle_f32_e32 0x4f000000, v18
	s_cbranch_execz .LBB5_128
; %bb.125:                              ;   in Loop: Header=BB5_108 Depth=1
	v_bfrev_b32_e32 v6, 1
	s_mov_b32 s5, exec_lo
	v_cmpx_nge_f32_e32 0xcf000000, v18
; %bb.126:                              ;   in Loop: Header=BB5_108 Depth=1
	v_cvt_i32_f32_e32 v6, v18
; %bb.127:                              ;   in Loop: Header=BB5_108 Depth=1
	s_or_b32 exec_lo, exec_lo, s5
.LBB5_128:                              ;   in Loop: Header=BB5_108 Depth=1
	s_delay_alu instid0(SALU_CYCLE_1) | instskip(SKIP_2) | instid1(VALU_DEP_1)
	s_or_b32 exec_lo, exec_lo, s0
	v_and_b32_e32 v7, 0xffff0000, v7
	s_mov_b32 s0, exec_lo
	v_mul_f32_e32 v7, v14, v7
	s_delay_alu instid0(VALU_DEP_1) | instskip(NEXT) | instid1(VALU_DEP_1)
	v_rndne_f32_e32 v7, v7
	v_cmpx_nle_f32_e32 0x4f000000, v7
	s_cbranch_execz .LBB5_132
; %bb.129:                              ;   in Loop: Header=BB5_108 Depth=1
	v_bfrev_b32_e32 v17, 1
	s_mov_b32 s5, exec_lo
	v_cmpx_nge_f32_e32 0xcf000000, v7
; %bb.130:                              ;   in Loop: Header=BB5_108 Depth=1
	v_cvt_i32_f32_e32 v17, v7
; %bb.131:                              ;   in Loop: Header=BB5_108 Depth=1
	s_or_b32 exec_lo, exec_lo, s5
.LBB5_132:                              ;   in Loop: Header=BB5_108 Depth=1
	s_delay_alu instid0(SALU_CYCLE_1) | instskip(SKIP_3) | instid1(VALU_DEP_2)
	s_or_b32 exec_lo, exec_lo, s0
	v_lshlrev_b32_e32 v7, 16, v8
	v_bfrev_b32_e32 v18, -2
	s_mov_b32 s0, exec_lo
	v_mul_f32_e32 v7, v14, v7
	s_delay_alu instid0(VALU_DEP_1) | instskip(SKIP_1) | instid1(VALU_DEP_2)
	v_rndne_f32_e32 v19, v7
	v_bfrev_b32_e32 v7, -2
	v_cmpx_nle_f32_e32 0x4f000000, v19
	s_cbranch_execz .LBB5_136
; %bb.133:                              ;   in Loop: Header=BB5_108 Depth=1
	v_bfrev_b32_e32 v7, 1
	s_mov_b32 s5, exec_lo
	v_cmpx_nge_f32_e32 0xcf000000, v19
; %bb.134:                              ;   in Loop: Header=BB5_108 Depth=1
	v_cvt_i32_f32_e32 v7, v19
; %bb.135:                              ;   in Loop: Header=BB5_108 Depth=1
	s_or_b32 exec_lo, exec_lo, s5
.LBB5_136:                              ;   in Loop: Header=BB5_108 Depth=1
	s_delay_alu instid0(SALU_CYCLE_1) | instskip(SKIP_2) | instid1(VALU_DEP_1)
	s_or_b32 exec_lo, exec_lo, s0
	v_and_b32_e32 v8, 0xffff0000, v8
	s_mov_b32 s0, exec_lo
	v_mul_f32_e32 v8, v14, v8
	s_delay_alu instid0(VALU_DEP_1) | instskip(NEXT) | instid1(VALU_DEP_1)
	v_rndne_f32_e32 v8, v8
	v_cmpx_nle_f32_e32 0x4f000000, v8
	s_cbranch_execz .LBB5_140
; %bb.137:                              ;   in Loop: Header=BB5_108 Depth=1
	v_bfrev_b32_e32 v18, 1
	s_mov_b32 s5, exec_lo
	v_cmpx_nge_f32_e32 0xcf000000, v8
; %bb.138:                              ;   in Loop: Header=BB5_108 Depth=1
	v_cvt_i32_f32_e32 v18, v8
; %bb.139:                              ;   in Loop: Header=BB5_108 Depth=1
	s_or_b32 exec_lo, exec_lo, s5
.LBB5_140:                              ;   in Loop: Header=BB5_108 Depth=1
	s_delay_alu instid0(SALU_CYCLE_1) | instskip(SKIP_4) | instid1(VALU_DEP_2)
	s_or_b32 exec_lo, exec_lo, s0
	s_waitcnt vmcnt(0)
	v_lshlrev_b32_e32 v8, 16, v1
	v_bfrev_b32_e32 v19, -2
	s_mov_b32 s0, exec_lo
	v_mul_f32_e32 v8, v14, v8
	s_delay_alu instid0(VALU_DEP_1) | instskip(SKIP_1) | instid1(VALU_DEP_2)
	v_rndne_f32_e32 v20, v8
	v_bfrev_b32_e32 v8, -2
	v_cmpx_nle_f32_e32 0x4f000000, v20
	s_cbranch_execz .LBB5_144
; %bb.141:                              ;   in Loop: Header=BB5_108 Depth=1
	v_bfrev_b32_e32 v8, 1
	s_mov_b32 s5, exec_lo
	v_cmpx_nge_f32_e32 0xcf000000, v20
; %bb.142:                              ;   in Loop: Header=BB5_108 Depth=1
	v_cvt_i32_f32_e32 v8, v20
; %bb.143:                              ;   in Loop: Header=BB5_108 Depth=1
	s_or_b32 exec_lo, exec_lo, s5
.LBB5_144:                              ;   in Loop: Header=BB5_108 Depth=1
	s_delay_alu instid0(SALU_CYCLE_1) | instskip(SKIP_2) | instid1(VALU_DEP_1)
	s_or_b32 exec_lo, exec_lo, s0
	v_and_b32_e32 v1, 0xffff0000, v1
	s_mov_b32 s0, exec_lo
	v_mul_f32_e32 v1, v14, v1
	s_delay_alu instid0(VALU_DEP_1) | instskip(NEXT) | instid1(VALU_DEP_1)
	v_rndne_f32_e32 v1, v1
	v_cmpx_nle_f32_e32 0x4f000000, v1
	s_cbranch_execz .LBB5_148
; %bb.145:                              ;   in Loop: Header=BB5_108 Depth=1
	v_bfrev_b32_e32 v19, 1
	s_mov_b32 s5, exec_lo
	v_cmpx_nge_f32_e32 0xcf000000, v1
; %bb.146:                              ;   in Loop: Header=BB5_108 Depth=1
	v_cvt_i32_f32_e32 v19, v1
; %bb.147:                              ;   in Loop: Header=BB5_108 Depth=1
	s_or_b32 exec_lo, exec_lo, s5
.LBB5_148:                              ;   in Loop: Header=BB5_108 Depth=1
	s_delay_alu instid0(SALU_CYCLE_1) | instskip(SKIP_3) | instid1(VALU_DEP_2)
	s_or_b32 exec_lo, exec_lo, s0
	v_lshlrev_b32_e32 v1, 16, v2
	v_bfrev_b32_e32 v20, -2
	s_mov_b32 s0, exec_lo
	v_mul_f32_e32 v1, v14, v1
	s_delay_alu instid0(VALU_DEP_1) | instskip(SKIP_1) | instid1(VALU_DEP_2)
	v_rndne_f32_e32 v21, v1
	v_bfrev_b32_e32 v1, -2
	v_cmpx_nle_f32_e32 0x4f000000, v21
	s_cbranch_execz .LBB5_152
; %bb.149:                              ;   in Loop: Header=BB5_108 Depth=1
	v_bfrev_b32_e32 v1, 1
	s_mov_b32 s5, exec_lo
	v_cmpx_nge_f32_e32 0xcf000000, v21
; %bb.150:                              ;   in Loop: Header=BB5_108 Depth=1
	v_cvt_i32_f32_e32 v1, v21
; %bb.151:                              ;   in Loop: Header=BB5_108 Depth=1
	s_or_b32 exec_lo, exec_lo, s5
.LBB5_152:                              ;   in Loop: Header=BB5_108 Depth=1
	s_delay_alu instid0(SALU_CYCLE_1) | instskip(SKIP_2) | instid1(VALU_DEP_1)
	s_or_b32 exec_lo, exec_lo, s0
	v_and_b32_e32 v2, 0xffff0000, v2
	s_mov_b32 s0, exec_lo
	v_mul_f32_e32 v2, v14, v2
	s_delay_alu instid0(VALU_DEP_1) | instskip(NEXT) | instid1(VALU_DEP_1)
	v_rndne_f32_e32 v2, v2
	v_cmpx_nle_f32_e32 0x4f000000, v2
	s_cbranch_execz .LBB5_156
; %bb.153:                              ;   in Loop: Header=BB5_108 Depth=1
	v_bfrev_b32_e32 v20, 1
	s_mov_b32 s5, exec_lo
	v_cmpx_nge_f32_e32 0xcf000000, v2
; %bb.154:                              ;   in Loop: Header=BB5_108 Depth=1
	v_cvt_i32_f32_e32 v20, v2
; %bb.155:                              ;   in Loop: Header=BB5_108 Depth=1
	s_or_b32 exec_lo, exec_lo, s5
.LBB5_156:                              ;   in Loop: Header=BB5_108 Depth=1
	s_delay_alu instid0(SALU_CYCLE_1) | instskip(SKIP_3) | instid1(VALU_DEP_2)
	s_or_b32 exec_lo, exec_lo, s0
	;; [unrolled: 38-line block ×3, first 2 shown]
	v_lshlrev_b32_e32 v3, 16, v4
	v_bfrev_b32_e32 v22, -2
	s_mov_b32 s0, exec_lo
	v_mul_f32_e32 v3, v14, v3
	s_delay_alu instid0(VALU_DEP_1) | instskip(SKIP_1) | instid1(VALU_DEP_2)
	v_rndne_f32_e32 v23, v3
	v_bfrev_b32_e32 v3, -2
	v_cmpx_nle_f32_e32 0x4f000000, v23
	s_cbranch_execz .LBB5_168
; %bb.165:                              ;   in Loop: Header=BB5_108 Depth=1
	v_bfrev_b32_e32 v22, 1
	s_mov_b32 s5, exec_lo
	v_cmpx_nge_f32_e32 0xcf000000, v23
; %bb.166:                              ;   in Loop: Header=BB5_108 Depth=1
	v_cvt_i32_f32_e32 v22, v23
; %bb.167:                              ;   in Loop: Header=BB5_108 Depth=1
	s_or_b32 exec_lo, exec_lo, s5
.LBB5_168:                              ;   in Loop: Header=BB5_108 Depth=1
	s_delay_alu instid0(SALU_CYCLE_1) | instskip(SKIP_2) | instid1(VALU_DEP_1)
	s_or_b32 exec_lo, exec_lo, s0
	v_and_b32_e32 v4, 0xffff0000, v4
	s_mov_b32 s0, exec_lo
	v_mul_f32_e32 v4, v14, v4
	s_delay_alu instid0(VALU_DEP_1) | instskip(NEXT) | instid1(VALU_DEP_1)
	v_rndne_f32_e32 v4, v4
	v_cmpx_nle_f32_e32 0x4f000000, v4
	s_cbranch_execz .LBB5_107
; %bb.169:                              ;   in Loop: Header=BB5_108 Depth=1
	v_bfrev_b32_e32 v3, 1
	s_mov_b32 s5, exec_lo
	v_cmpx_nge_f32_e32 0xcf000000, v4
	s_cbranch_execz .LBB5_106
; %bb.170:                              ;   in Loop: Header=BB5_108 Depth=1
	v_cvt_i32_f32_e32 v3, v4
	s_branch .LBB5_106
.LBB5_171:
	s_nop 0
	s_sendmsg sendmsg(MSG_DEALLOC_VGPRS)
	s_endpgm
	.section	.rodata,"a",@progbits
	.p2align	6, 0x0
	.amdhsa_kernel _ZN4vllm35static_scaled_int8_azp_quant_kernelIN3c108BFloat16EfiEEvPKT_PaPKT0_PKT1_i
		.amdhsa_group_segment_fixed_size 0
		.amdhsa_private_segment_fixed_size 0
		.amdhsa_kernarg_size 296
		.amdhsa_user_sgpr_count 15
		.amdhsa_user_sgpr_dispatch_ptr 0
		.amdhsa_user_sgpr_queue_ptr 0
		.amdhsa_user_sgpr_kernarg_segment_ptr 1
		.amdhsa_user_sgpr_dispatch_id 0
		.amdhsa_user_sgpr_private_segment_size 0
		.amdhsa_wavefront_size32 1
		.amdhsa_uses_dynamic_stack 0
		.amdhsa_enable_private_segment 0
		.amdhsa_system_sgpr_workgroup_id_x 1
		.amdhsa_system_sgpr_workgroup_id_y 0
		.amdhsa_system_sgpr_workgroup_id_z 0
		.amdhsa_system_sgpr_workgroup_info 0
		.amdhsa_system_vgpr_workitem_id 0
		.amdhsa_next_free_vgpr 76
		.amdhsa_next_free_sgpr 62
		.amdhsa_reserve_vcc 1
		.amdhsa_float_round_mode_32 0
		.amdhsa_float_round_mode_16_64 0
		.amdhsa_float_denorm_mode_32 3
		.amdhsa_float_denorm_mode_16_64 3
		.amdhsa_dx10_clamp 1
		.amdhsa_ieee_mode 1
		.amdhsa_fp16_overflow 0
		.amdhsa_workgroup_processor_mode 1
		.amdhsa_memory_ordered 1
		.amdhsa_forward_progress 0
		.amdhsa_shared_vgpr_count 0
		.amdhsa_exception_fp_ieee_invalid_op 0
		.amdhsa_exception_fp_denorm_src 0
		.amdhsa_exception_fp_ieee_div_zero 0
		.amdhsa_exception_fp_ieee_overflow 0
		.amdhsa_exception_fp_ieee_underflow 0
		.amdhsa_exception_fp_ieee_inexact 0
		.amdhsa_exception_int_div_zero 0
	.end_amdhsa_kernel
	.section	.text._ZN4vllm35static_scaled_int8_azp_quant_kernelIN3c108BFloat16EfiEEvPKT_PaPKT0_PKT1_i,"axG",@progbits,_ZN4vllm35static_scaled_int8_azp_quant_kernelIN3c108BFloat16EfiEEvPKT_PaPKT0_PKT1_i,comdat
.Lfunc_end5:
	.size	_ZN4vllm35static_scaled_int8_azp_quant_kernelIN3c108BFloat16EfiEEvPKT_PaPKT0_PKT1_i, .Lfunc_end5-_ZN4vllm35static_scaled_int8_azp_quant_kernelIN3c108BFloat16EfiEEvPKT_PaPKT0_PKT1_i
                                        ; -- End function
	.section	.AMDGPU.csdata,"",@progbits
; Kernel info:
; codeLenInByte = 12116
; NumSgprs: 64
; NumVgprs: 76
; ScratchSize: 0
; MemoryBound: 0
; FloatMode: 240
; IeeeMode: 1
; LDSByteSize: 0 bytes/workgroup (compile time only)
; SGPRBlocks: 7
; VGPRBlocks: 9
; NumSGPRsForWavesPerEU: 64
; NumVGPRsForWavesPerEU: 76
; Occupancy: 16
; WaveLimiterHint : 0
; COMPUTE_PGM_RSRC2:SCRATCH_EN: 0
; COMPUTE_PGM_RSRC2:USER_SGPR: 15
; COMPUTE_PGM_RSRC2:TRAP_HANDLER: 0
; COMPUTE_PGM_RSRC2:TGID_X_EN: 1
; COMPUTE_PGM_RSRC2:TGID_Y_EN: 0
; COMPUTE_PGM_RSRC2:TGID_Z_EN: 0
; COMPUTE_PGM_RSRC2:TIDIG_COMP_CNT: 0
	.section	.text._ZN4vllm32dynamic_scaled_int8_quant_kernelIffEEvPKT_PaPT0_i,"axG",@progbits,_ZN4vllm32dynamic_scaled_int8_quant_kernelIffEEvPKT_PaPT0_i,comdat
	.protected	_ZN4vllm32dynamic_scaled_int8_quant_kernelIffEEvPKT_PaPT0_i ; -- Begin function _ZN4vllm32dynamic_scaled_int8_quant_kernelIffEEvPKT_PaPT0_i
	.globl	_ZN4vllm32dynamic_scaled_int8_quant_kernelIffEEvPKT_PaPT0_i
	.p2align	8
	.type	_ZN4vllm32dynamic_scaled_int8_quant_kernelIffEEvPKT_PaPT0_i,@function
_ZN4vllm32dynamic_scaled_int8_quant_kernelIffEEvPKT_PaPT0_i: ; @_ZN4vllm32dynamic_scaled_int8_quant_kernelIffEEvPKT_PaPT0_i
; %bb.0:
	s_clause 0x2
	s_load_b32 s27, s[0:1], 0x18
	s_load_b64 s[16:17], s[0:1], 0x0
	s_load_b32 s2, s[0:1], 0x2c
	s_mov_b32 s7, 0
	s_mov_b32 s8, s15
	s_waitcnt lgkmcnt(0)
	s_ashr_i32 s3, s27, 31
	s_mul_hi_u32 s4, s27, s15
	s_mul_i32 s3, s3, s15
	s_mul_i32 s20, s27, s15
	s_add_i32 s21, s4, s3
	s_and_b32 s26, s2, 0xffff
	s_lshl_b64 s[18:19], s[20:21], 2
	s_delay_alu instid0(SALU_CYCLE_1) | instskip(NEXT) | instid1(SALU_CYCLE_1)
	s_add_u32 s10, s16, s18
	s_and_b32 s6, s10, 63
	s_delay_alu instid0(SALU_CYCLE_1) | instskip(SKIP_2) | instid1(SALU_CYCLE_1)
	s_cmp_lg_u64 s[6:7], 0
	s_cselect_b32 s2, -1, 0
	s_and_b32 s3, s27, 15
	s_cmp_lg_u32 s3, 0
	s_cselect_b32 s3, -1, 0
	s_delay_alu instid0(SALU_CYCLE_1) | instskip(NEXT) | instid1(SALU_CYCLE_1)
	s_or_b32 s11, s3, s2
	s_and_b32 vcc_lo, exec_lo, s11
	s_cbranch_vccz .LBB6_14
; %bb.1:
	s_sub_i32 s2, 0, s10
	v_mov_b32_e32 v4, 0
	s_bfe_u32 s2, s2, 0x40002
	s_mov_b32 s3, exec_lo
	s_min_i32 s4, s2, s27
	s_delay_alu instid0(SALU_CYCLE_1)
	v_cmpx_gt_i32_e64 s4, v0
	s_cbranch_execz .LBB6_5
; %bb.2:
	v_dual_mov_b32 v4, 0 :: v_dual_lshlrev_b32 v1, 2, v0
	s_add_u32 s2, s16, s18
	s_addc_u32 s5, s17, s19
	v_mov_b32_e32 v3, v0
	s_delay_alu instid0(VALU_DEP_2) | instskip(NEXT) | instid1(VALU_DEP_1)
	v_add_co_u32 v1, s2, s2, v1
	v_add_co_ci_u32_e64 v2, null, s5, 0, s2
	s_mov_b32 s5, 0
	s_lshl_b32 s6, s26, 2
.LBB6_3:                                ; =>This Inner Loop Header: Depth=1
	global_load_b32 v5, v[1:2], off
	v_dual_max_f32 v4, v4, v4 :: v_dual_add_nc_u32 v3, s26, v3
	v_add_co_u32 v1, vcc_lo, v1, s6
	v_add_co_ci_u32_e32 v2, vcc_lo, 0, v2, vcc_lo
	s_delay_alu instid0(VALU_DEP_3) | instskip(NEXT) | instid1(VALU_DEP_1)
	v_cmp_le_i32_e64 s2, s4, v3
	s_or_b32 s5, s2, s5
	s_waitcnt vmcnt(0)
	v_max_f32_e64 v5, |v5|, |v5|
	s_delay_alu instid0(VALU_DEP_1)
	v_max_f32_e32 v4, v4, v5
	s_and_not1_b32 exec_lo, exec_lo, s5
	s_cbranch_execnz .LBB6_3
; %bb.4:
	s_or_b32 exec_lo, exec_lo, s5
.LBB6_5:
	s_delay_alu instid0(SALU_CYCLE_1)
	s_or_b32 exec_lo, exec_lo, s3
	s_sub_i32 s3, s27, s4
	s_ashr_i32 s5, s4, 31
	s_ashr_i32 s2, s3, 31
	s_mov_b32 s9, exec_lo
	s_lshr_b32 s2, s2, 28
	s_delay_alu instid0(SALU_CYCLE_1) | instskip(NEXT) | instid1(SALU_CYCLE_1)
	s_add_i32 s2, s3, s2
	s_ashr_i32 s6, s2, 4
	s_delay_alu instid0(SALU_CYCLE_1)
	v_cmpx_gt_i32_e64 s6, v0
	s_cbranch_execz .LBB6_9
; %bb.6:
	s_lshl_b64 s[12:13], s[4:5], 2
	v_lshlrev_b32_e32 v1, 6, v0
	s_add_u32 s2, s16, s12
	s_addc_u32 s12, s17, s13
	s_add_u32 s2, s2, s18
	s_addc_u32 s12, s12, s19
	v_add_co_u32 v1, s2, s2, v1
	s_delay_alu instid0(VALU_DEP_1)
	v_add_co_ci_u32_e64 v2, null, s12, 0, s2
	v_mov_b32_e32 v3, v0
	s_mov_b32 s12, 0
	s_lshl_b32 s13, s26, 6
	s_set_inst_prefetch_distance 0x1
	.p2align	6
.LBB6_7:                                ; =>This Inner Loop Header: Depth=1
	s_clause 0x3
	global_load_b128 v[5:8], v[1:2], off
	global_load_b128 v[9:12], v[1:2], off offset:16
	global_load_b128 v[13:16], v[1:2], off offset:32
	;; [unrolled: 1-line block ×3, first 2 shown]
	v_add_nc_u32_e32 v3, s26, v3
	v_add_co_u32 v1, vcc_lo, v1, s13
	v_add_co_ci_u32_e32 v2, vcc_lo, 0, v2, vcc_lo
	s_delay_alu instid0(VALU_DEP_3) | instskip(NEXT) | instid1(VALU_DEP_1)
	v_cmp_le_i32_e64 s2, s6, v3
	s_or_b32 s12, s2, s12
	s_waitcnt vmcnt(3)
	v_max3_f32 v4, v4, |v5|, |v6|
	s_delay_alu instid0(VALU_DEP_1) | instskip(SKIP_1) | instid1(VALU_DEP_1)
	v_max3_f32 v4, v4, |v7|, |v8|
	s_waitcnt vmcnt(2)
	v_max3_f32 v4, v4, |v9|, |v10|
	s_delay_alu instid0(VALU_DEP_1) | instskip(SKIP_1) | instid1(VALU_DEP_1)
	v_max3_f32 v4, v4, |v11|, |v12|
	;; [unrolled: 4-line block ×3, first 2 shown]
	s_waitcnt vmcnt(0)
	v_max3_f32 v4, v4, |v17|, |v18|
	s_delay_alu instid0(VALU_DEP_1)
	v_max3_f32 v4, v4, |v19|, |v20|
	s_and_not1_b32 exec_lo, exec_lo, s12
	s_cbranch_execnz .LBB6_7
; %bb.8:
	s_set_inst_prefetch_distance 0x2
	s_or_b32 exec_lo, exec_lo, s12
.LBB6_9:
	s_delay_alu instid0(SALU_CYCLE_1) | instskip(SKIP_2) | instid1(VALU_DEP_1)
	s_or_b32 exec_lo, exec_lo, s9
	v_lshl_add_u32 v1, s6, 4, v0
	s_mov_b32 s6, exec_lo
	v_cmpx_gt_i32_e64 s3, v1
	s_cbranch_execz .LBB6_13
; %bb.10:
	v_ashrrev_i32_e32 v2, 31, v1
	s_lshl_b64 s[4:5], s[4:5], 2
	s_delay_alu instid0(SALU_CYCLE_1) | instskip(SKIP_1) | instid1(VALU_DEP_1)
	s_add_u32 s2, s18, s4
	s_addc_u32 s4, s19, s5
	v_lshlrev_b64 v[2:3], 2, v[1:2]
	s_add_u32 s2, s16, s2
	s_addc_u32 s4, s17, s4
	s_lshl_b32 s5, s26, 2
	s_delay_alu instid0(VALU_DEP_1) | instskip(NEXT) | instid1(VALU_DEP_2)
	v_add_co_u32 v2, vcc_lo, s2, v2
	v_add_co_ci_u32_e32 v3, vcc_lo, s4, v3, vcc_lo
	s_mov_b32 s4, 0
.LBB6_11:                               ; =>This Inner Loop Header: Depth=1
	global_load_b32 v5, v[2:3], off
	v_dual_max_f32 v4, v4, v4 :: v_dual_add_nc_u32 v1, s26, v1
	v_add_co_u32 v2, vcc_lo, v2, s5
	v_add_co_ci_u32_e32 v3, vcc_lo, 0, v3, vcc_lo
	s_delay_alu instid0(VALU_DEP_3) | instskip(NEXT) | instid1(VALU_DEP_1)
	v_cmp_le_i32_e64 s2, s3, v1
	s_or_b32 s4, s2, s4
	s_waitcnt vmcnt(0)
	v_max_f32_e64 v5, |v5|, |v5|
	s_delay_alu instid0(VALU_DEP_1)
	v_max_f32_e32 v4, v4, v5
	s_and_not1_b32 exec_lo, exec_lo, s4
	s_cbranch_execnz .LBB6_11
; %bb.12:
	s_or_b32 exec_lo, exec_lo, s4
.LBB6_13:
	s_delay_alu instid0(SALU_CYCLE_1)
	s_or_b32 exec_lo, exec_lo, s6
	s_branch .LBB6_20
.LBB6_14:
                                        ; implicit-def: $vgpr4
	s_cbranch_execz .LBB6_20
; %bb.15:
	v_mov_b32_e32 v4, 0
	s_ashr_i32 s4, s27, 4
	s_mov_b32 s3, exec_lo
	v_cmpx_gt_i32_e64 s4, v0
	s_cbranch_execz .LBB6_19
; %bb.16:
	v_dual_mov_b32 v4, 0 :: v_dual_lshlrev_b32 v1, 6, v0
	s_add_u32 s2, s16, s18
	s_addc_u32 s5, s17, s19
	v_mov_b32_e32 v3, v0
	s_delay_alu instid0(VALU_DEP_2) | instskip(NEXT) | instid1(VALU_DEP_1)
	v_add_co_u32 v1, s2, s2, v1
	v_add_co_ci_u32_e64 v2, null, s5, 0, s2
	s_mov_b32 s5, 0
	s_lshl_b32 s6, s26, 6
	s_set_inst_prefetch_distance 0x1
	.p2align	6
.LBB6_17:                               ; =>This Inner Loop Header: Depth=1
	s_clause 0x3
	global_load_b128 v[5:8], v[1:2], off
	global_load_b128 v[9:12], v[1:2], off offset:16
	global_load_b128 v[13:16], v[1:2], off offset:32
	;; [unrolled: 1-line block ×3, first 2 shown]
	v_add_nc_u32_e32 v3, s26, v3
	v_add_co_u32 v1, vcc_lo, v1, s6
	v_add_co_ci_u32_e32 v2, vcc_lo, 0, v2, vcc_lo
	s_delay_alu instid0(VALU_DEP_3) | instskip(NEXT) | instid1(VALU_DEP_1)
	v_cmp_le_i32_e64 s2, s4, v3
	s_or_b32 s5, s2, s5
	s_waitcnt vmcnt(3)
	v_max3_f32 v4, v4, |v5|, |v6|
	s_delay_alu instid0(VALU_DEP_1) | instskip(SKIP_1) | instid1(VALU_DEP_1)
	v_max3_f32 v4, v4, |v7|, |v8|
	s_waitcnt vmcnt(2)
	v_max3_f32 v4, v4, |v9|, |v10|
	s_delay_alu instid0(VALU_DEP_1) | instskip(SKIP_1) | instid1(VALU_DEP_1)
	v_max3_f32 v4, v4, |v11|, |v12|
	;; [unrolled: 4-line block ×3, first 2 shown]
	s_waitcnt vmcnt(0)
	v_max3_f32 v4, v4, |v17|, |v18|
	s_delay_alu instid0(VALU_DEP_1)
	v_max3_f32 v4, v4, |v19|, |v20|
	s_and_not1_b32 exec_lo, exec_lo, s5
	s_cbranch_execnz .LBB6_17
; %bb.18:
	s_set_inst_prefetch_distance 0x2
	s_or_b32 exec_lo, exec_lo, s5
.LBB6_19:
	s_delay_alu instid0(SALU_CYCLE_1)
	s_or_b32 exec_lo, exec_lo, s3
.LBB6_20:
	v_mbcnt_lo_u32_b32 v1, -1, 0
	s_delay_alu instid0(VALU_DEP_1)
	v_cmp_ne_u32_e32 vcc_lo, 31, v1
	v_add_nc_u32_e32 v6, 1, v1
	v_cmp_gt_u32_e64 s2, 28, v1
	v_add_nc_u32_e32 v7, 2, v1
	v_cmp_gt_u32_e64 s3, 24, v1
	v_add_co_ci_u32_e32 v2, vcc_lo, 0, v1, vcc_lo
	v_cmp_gt_u32_e32 vcc_lo, 30, v1
	v_cmp_gt_u32_e64 s4, 16, v1
	s_delay_alu instid0(VALU_DEP_3)
	v_lshlrev_b32_e32 v2, 2, v2
	v_cndmask_b32_e64 v5, 0, 1, vcc_lo
	ds_bpermute_b32 v2, v2, v4
	s_waitcnt lgkmcnt(0)
	v_cmp_lt_f32_e32 vcc_lo, v4, v2
	v_dual_cndmask_b32 v2, v4, v2 :: v_dual_and_b32 v3, 0x3e0, v0
	s_delay_alu instid0(VALU_DEP_1) | instskip(NEXT) | instid1(VALU_DEP_1)
	v_sub_nc_u32_e64 v3, s26, v3 clamp
	v_cmp_lt_u32_e32 vcc_lo, v6, v3
	v_lshlrev_b32_e32 v5, 1, v5
	v_cndmask_b32_e64 v6, 0, 1, s2
	v_cndmask_b32_e32 v2, v4, v2, vcc_lo
	s_delay_alu instid0(VALU_DEP_3) | instskip(NEXT) | instid1(VALU_DEP_3)
	v_add_lshl_u32 v5, v5, v1, 2
	v_lshlrev_b32_e32 v6, 2, v6
	ds_bpermute_b32 v5, v5, v2
	v_add_lshl_u32 v6, v6, v1, 2
	s_waitcnt lgkmcnt(0)
	v_cmp_lt_f32_e64 s2, v2, v5
	s_delay_alu instid0(VALU_DEP_1) | instskip(SKIP_2) | instid1(VALU_DEP_2)
	v_cndmask_b32_e64 v5, v2, v5, s2
	v_cmp_lt_u32_e64 s2, v7, v3
	v_add_nc_u32_e32 v7, 4, v1
	v_cndmask_b32_e64 v2, v2, v5, s2
	s_or_b32 s2, vcc_lo, s2
	ds_bpermute_b32 v5, v6, v2
	v_cndmask_b32_e64 v6, 0, 1, s3
	s_delay_alu instid0(VALU_DEP_1) | instskip(NEXT) | instid1(VALU_DEP_1)
	v_lshlrev_b32_e32 v6, 3, v6
	v_add_lshl_u32 v6, v6, v1, 2
	s_waitcnt lgkmcnt(0)
	v_cmp_lt_f32_e64 s3, v2, v5
	s_delay_alu instid0(VALU_DEP_1) | instskip(SKIP_2) | instid1(VALU_DEP_2)
	v_cndmask_b32_e64 v5, v2, v5, s3
	v_cmp_lt_u32_e64 s3, v7, v3
	v_add_nc_u32_e32 v7, 8, v1
	v_cndmask_b32_e64 v2, v2, v5, s3
	s_or_b32 s2, s3, s2
	ds_bpermute_b32 v5, v6, v2
	v_cndmask_b32_e64 v6, 0, 1, s4
	s_delay_alu instid0(VALU_DEP_1) | instskip(NEXT) | instid1(VALU_DEP_1)
	v_lshlrev_b32_e32 v6, 4, v6
	v_add_lshl_u32 v6, v6, v1, 2
	s_waitcnt lgkmcnt(0)
	v_cmp_lt_f32_e64 s4, v2, v5
	s_delay_alu instid0(VALU_DEP_1) | instskip(SKIP_1) | instid1(VALU_DEP_1)
	v_cndmask_b32_e64 v5, v2, v5, s4
	v_cmp_lt_u32_e64 s4, v7, v3
	v_cndmask_b32_e64 v2, v2, v5, s4
	s_or_b32 s2, s4, s2
	ds_bpermute_b32 v5, v6, v2
	v_add_nc_u32_e32 v6, 16, v1
	s_delay_alu instid0(VALU_DEP_1) | instskip(SKIP_2) | instid1(VALU_DEP_1)
	v_cmp_lt_u32_e64 s5, v6, v3
	s_waitcnt lgkmcnt(0)
	v_cmp_lt_f32_e64 s6, v2, v5
	s_and_b32 vcc_lo, s5, s6
	v_cndmask_b32_e32 v2, v2, v5, vcc_lo
	s_or_b32 vcc_lo, s5, s2
	s_mov_b32 s2, exec_lo
	s_delay_alu instid0(VALU_DEP_1)
	v_cndmask_b32_e32 v2, v4, v2, vcc_lo
	v_cmpx_eq_u32_e32 0, v1
	s_cbranch_execz .LBB6_22
; %bb.21:
	v_lshrrev_b32_e32 v3, 3, v0
	s_delay_alu instid0(VALU_DEP_1)
	v_and_b32_e32 v3, 0x7c, v3
	ds_store_b32 v3, v2
.LBB6_22:
	s_or_b32 exec_lo, exec_lo, s2
	s_delay_alu instid0(SALU_CYCLE_1)
	s_mov_b32 s4, exec_lo
	s_waitcnt lgkmcnt(0)
	s_barrier
	buffer_gl0_inv
	v_cmpx_gt_u32_e32 8, v0
	s_cbranch_execz .LBB6_24
; %bb.23:
	v_lshlrev_b32_e32 v2, 2, v1
	s_add_i32 s2, s26, 31
	s_delay_alu instid0(SALU_CYCLE_1) | instskip(SKIP_2) | instid1(VALU_DEP_1)
	s_lshr_b32 s3, s2, 5
	ds_load_b32 v2, v2
	v_and_b32_e32 v3, 7, v1
	v_cmp_ne_u32_e32 vcc_lo, 7, v3
	v_add_co_ci_u32_e32 v4, vcc_lo, 0, v1, vcc_lo
	v_cmp_gt_u32_e32 vcc_lo, 6, v3
	s_delay_alu instid0(VALU_DEP_2)
	v_lshlrev_b32_e32 v4, 2, v4
	v_cndmask_b32_e64 v5, 0, 1, vcc_lo
	s_waitcnt lgkmcnt(0)
	ds_bpermute_b32 v4, v4, v2
	s_waitcnt lgkmcnt(0)
	v_cmp_lt_f32_e32 vcc_lo, v2, v4
	v_cndmask_b32_e32 v4, v2, v4, vcc_lo
	v_add_nc_u32_e32 v6, 1, v3
	v_cmp_gt_u32_e64 s2, 4, v3
	v_add_nc_u32_e32 v8, 2, v3
	v_add_nc_u32_e32 v3, 4, v3
	s_delay_alu instid0(VALU_DEP_4) | instskip(SKIP_3) | instid1(VALU_DEP_3)
	v_cmp_gt_u32_e32 vcc_lo, s3, v6
	v_lshlrev_b32_e32 v5, 1, v5
	v_cndmask_b32_e64 v7, 0, 1, s2
	v_cndmask_b32_e32 v6, v2, v4, vcc_lo
	v_add_lshl_u32 v5, v5, v1, 2
	s_delay_alu instid0(VALU_DEP_3) | instskip(SKIP_4) | instid1(VALU_DEP_1)
	v_lshlrev_b32_e32 v7, 2, v7
	ds_bpermute_b32 v5, v5, v6
	v_add_lshl_u32 v1, v7, v1, 2
	s_waitcnt lgkmcnt(0)
	v_cmp_lt_f32_e64 s2, v6, v5
	v_cndmask_b32_e64 v5, v6, v5, s2
	v_cmp_gt_u32_e64 s2, s3, v8
	s_delay_alu instid0(VALU_DEP_1)
	v_cndmask_b32_e64 v6, v6, v5, s2
	v_cndmask_b32_e64 v4, v4, v5, s2
	v_cmp_gt_u32_e64 s2, s3, v3
	ds_bpermute_b32 v1, v1, v6
	s_waitcnt lgkmcnt(0)
	v_cmp_lt_f32_e64 s3, v4, v1
	s_delay_alu instid0(VALU_DEP_1) | instskip(NEXT) | instid1(SALU_CYCLE_1)
	s_and_b32 s2, s2, s3
	v_cndmask_b32_e64 v1, v4, v1, s2
	s_delay_alu instid0(VALU_DEP_1)
	v_cndmask_b32_e32 v2, v2, v1, vcc_lo
.LBB6_24:
	s_or_b32 exec_lo, exec_lo, s4
	s_load_b64 s[22:23], s[0:1], 0x8
	s_mov_b32 s2, exec_lo
	v_cmpx_eq_u32_e32 0, v0
	s_cbranch_execz .LBB6_26
; %bb.25:
	v_div_scale_f32 v1, null, 0x42fe0000, 0x42fe0000, v2
	v_div_scale_f32 v5, vcc_lo, v2, 0x42fe0000, v2
	s_load_b64 s[0:1], s[0:1], 0x10
	s_delay_alu instid0(VALU_DEP_2) | instskip(SKIP_1) | instid1(SALU_CYCLE_1)
	v_rcp_f32_e32 v3, v1
	s_mov_b32 s9, s7
	s_lshl_b64 s[4:5], s[8:9], 2
	s_waitcnt_depctr 0xfff
	v_fma_f32 v4, -v1, v3, 1.0
	s_delay_alu instid0(VALU_DEP_1) | instskip(SKIP_2) | instid1(VALU_DEP_1)
	v_fmac_f32_e32 v3, v4, v3
	s_waitcnt lgkmcnt(0)
	s_add_u32 s0, s0, s4
	v_mul_f32_e32 v4, v5, v3
	s_addc_u32 s1, s1, s5
	s_delay_alu instid0(VALU_DEP_1) | instskip(NEXT) | instid1(VALU_DEP_1)
	v_fma_f32 v6, -v1, v4, v5
	v_fmac_f32_e32 v4, v6, v3
	s_delay_alu instid0(VALU_DEP_1) | instskip(NEXT) | instid1(VALU_DEP_1)
	v_fma_f32 v1, -v1, v4, v5
	v_div_fmas_f32 v1, v1, v3, v4
	v_mov_b32_e32 v3, 0
	s_delay_alu instid0(VALU_DEP_2)
	v_div_fixup_f32 v1, v1, 0x42fe0000, v2
	ds_store_b32 v3, v2 offset:32
	global_store_b32 v3, v1, s[0:1]
.LBB6_26:
	s_or_b32 exec_lo, exec_lo, s2
	v_mov_b32_e32 v1, 0
	s_waitcnt lgkmcnt(0)
	s_waitcnt_vscnt null, 0x0
	s_barrier
	buffer_gl0_inv
	s_mov_b32 s0, -1
	ds_load_b32 v1, v1 offset:32
	s_waitcnt lgkmcnt(0)
	v_div_scale_f32 v2, null, v1, v1, 0x42fe0000
	v_div_scale_f32 v5, vcc_lo, 0x42fe0000, v1, 0x42fe0000
	s_delay_alu instid0(VALU_DEP_2) | instskip(SKIP_2) | instid1(VALU_DEP_1)
	v_rcp_f32_e32 v3, v2
	s_waitcnt_depctr 0xfff
	v_fma_f32 v4, -v2, v3, 1.0
	v_fmac_f32_e32 v3, v4, v3
	s_delay_alu instid0(VALU_DEP_1) | instskip(NEXT) | instid1(VALU_DEP_1)
	v_mul_f32_e32 v4, v5, v3
	v_fma_f32 v6, -v2, v4, v5
	s_delay_alu instid0(VALU_DEP_1) | instskip(NEXT) | instid1(VALU_DEP_1)
	v_fmac_f32_e32 v4, v6, v3
	v_fma_f32 v2, -v2, v4, v5
	s_delay_alu instid0(VALU_DEP_1) | instskip(SKIP_1) | instid1(VALU_DEP_2)
	v_div_fmas_f32 v2, v2, v3, v4
	v_cmp_neq_f32_e32 vcc_lo, 0, v1
	v_div_fixup_f32 v2, v2, v1, 0x42fe0000
	s_delay_alu instid0(VALU_DEP_1)
	v_cndmask_b32_e32 v6, 0, v2, vcc_lo
	s_and_b32 vcc_lo, exec_lo, s11
	s_cbranch_vccz .LBB6_37
; %bb.27:
	s_sub_i32 s0, 0, s10
	s_mov_b32 s2, 0
	s_bfe_u32 s0, s0, 0x40002
	s_mov_b32 s1, exec_lo
	s_min_i32 s24, s0, s27
	s_delay_alu instid0(SALU_CYCLE_1)
	v_cmpx_gt_i32_e64 s24, v0
	s_cbranch_execz .LBB6_30
; %bb.28:
	v_dual_mov_b32 v1, 0 :: v_dual_lshlrev_b32 v2, 2, v0
	s_add_u32 s3, s22, s20
	s_addc_u32 s4, s23, s21
	s_add_u32 s0, s16, s18
	s_addc_u32 s5, s17, s19
	v_add_co_u32 v2, s0, s0, v2
	s_delay_alu instid0(VALU_DEP_1)
	v_add_co_ci_u32_e64 v3, null, s5, 0, s0
	v_dual_mov_b32 v5, v1 :: v_dual_mov_b32 v4, v0
	s_lshl_b32 s5, s26, 2
	.p2align	6
.LBB6_29:                               ; =>This Inner Loop Header: Depth=1
	global_load_b32 v1, v[2:3], off
	v_add_co_u32 v7, vcc_lo, s3, v4
	v_add_co_ci_u32_e32 v8, vcc_lo, s4, v5, vcc_lo
	v_add_co_u32 v4, vcc_lo, v4, s26
	v_add_co_ci_u32_e32 v5, vcc_lo, 0, v5, vcc_lo
	s_waitcnt vmcnt(0)
	v_mul_f32_e32 v1, v6, v1
	s_delay_alu instid0(VALU_DEP_1) | instskip(NEXT) | instid1(VALU_DEP_1)
	v_rndne_f32_e32 v1, v1
	v_cmp_nlt_f32_e64 s0, 0x42fe0000, v1
	v_cmp_ngt_f32_e32 vcc_lo, 0xc3000000, v1
	s_delay_alu instid0(VALU_DEP_2) | instskip(SKIP_1) | instid1(VALU_DEP_2)
	v_cndmask_b32_e64 v9, 0x42fe0000, v1, s0
	v_cmp_le_i32_e64 s0, s24, v4
	v_cndmask_b32_e32 v1, 0xc3000000, v9, vcc_lo
	v_add_co_u32 v2, vcc_lo, v2, s5
	v_add_co_ci_u32_e32 v3, vcc_lo, 0, v3, vcc_lo
	s_delay_alu instid0(VALU_DEP_3)
	v_cvt_i32_f32_e32 v1, v1
	s_or_b32 s2, s0, s2
	global_store_b8 v[7:8], v1, off
	s_and_not1_b32 exec_lo, exec_lo, s2
	s_cbranch_execnz .LBB6_29
.LBB6_30:
	s_or_b32 exec_lo, exec_lo, s1
	s_sub_i32 s28, s27, s24
	s_ashr_i32 s25, s24, 31
	s_ashr_i32 s0, s28, 31
	s_mov_b32 s30, exec_lo
	s_lshr_b32 s0, s0, 28
	s_delay_alu instid0(SALU_CYCLE_1) | instskip(NEXT) | instid1(SALU_CYCLE_1)
	s_add_i32 s0, s28, s0
	s_ashr_i32 s29, s0, 4
	s_delay_alu instid0(SALU_CYCLE_1)
	v_cmpx_gt_i32_e64 s29, v0
	s_cbranch_execz .LBB6_33
; %bb.31:
	v_lshlrev_b32_e32 v1, 4, v0
	s_add_u32 s0, s24, s20
	s_addc_u32 s1, s25, s21
	s_add_u32 s0, s22, s0
	s_addc_u32 s1, s23, s1
	v_add_co_u32 v1, s0, s0, v1
	s_delay_alu instid0(VALU_DEP_1)
	v_add_co_ci_u32_e64 v2, null, s1, 0, s0
	s_lshl_b64 s[0:1], s[24:25], 2
	s_lshl_b32 s31, s26, 4
	v_lshlrev_b32_e32 v3, 6, v0
	s_add_u32 s0, s16, s0
	s_addc_u32 s1, s17, s1
	s_add_u32 s0, s0, s18
	s_addc_u32 s1, s1, s19
	v_add_co_u32 v3, s0, s0, v3
	s_delay_alu instid0(VALU_DEP_1)
	v_add_co_ci_u32_e64 v4, null, s1, 0, s0
	v_mov_b32_e32 v5, v0
	s_mov_b32 s33, 0
	s_lshl_b32 s34, s26, 6
.LBB6_32:                               ; =>This Inner Loop Header: Depth=1
	s_clause 0x3
	global_load_b128 v[7:10], v[3:4], off
	global_load_b128 v[11:14], v[3:4], off offset:16
	global_load_b128 v[15:18], v[3:4], off offset:32
	;; [unrolled: 1-line block ×3, first 2 shown]
	v_add_nc_u32_e32 v5, s26, v5
	v_add_co_u32 v3, vcc_lo, v3, s34
	v_add_co_ci_u32_e32 v4, vcc_lo, 0, v4, vcc_lo
	s_waitcnt vmcnt(3)
	v_mul_f32_e32 v8, v6, v8
	v_mul_f32_e32 v7, v6, v7
	;; [unrolled: 1-line block ×3, first 2 shown]
	s_waitcnt vmcnt(2)
	v_mul_f32_e32 v11, v6, v11
	v_mul_f32_e32 v12, v6, v12
	;; [unrolled: 1-line block ×3, first 2 shown]
	v_rndne_f32_e32 v7, v7
	v_rndne_f32_e32 v8, v8
	;; [unrolled: 1-line block ×5, first 2 shown]
	v_cmp_nlt_f32_e64 s0, 0x42fe0000, v7
	v_cmp_ngt_f32_e64 s15, 0xc3000000, v7
	v_rndne_f32_e32 v13, v13
	v_cmp_nlt_f32_e64 s1, 0x42fe0000, v9
	v_cmp_nlt_f32_e64 s3, 0x42fe0000, v11
	v_cndmask_b32_e64 v23, 0x42fe0000, v7, s0
	v_cmp_nlt_f32_e64 s0, 0x42fe0000, v8
	v_cmp_nlt_f32_e64 s4, 0x42fe0000, v12
	;; [unrolled: 1-line block ×3, first 2 shown]
	v_mul_f32_e32 v14, v6, v14
	v_cndmask_b32_e64 v7, 0xc3000000, v23, s15
	v_cndmask_b32_e64 v24, 0x42fe0000, v8, s0
	v_cmp_ngt_f32_e64 s0, 0xc3000000, v8
	v_cndmask_b32_e64 v8, 0x42fe0000, v9, s1
	v_cmp_ngt_f32_e64 s1, 0xc3000000, v9
	v_cvt_i32_f32_e32 v7, v7
	v_mul_f32_e32 v10, v6, v10
	s_waitcnt vmcnt(1)
	v_mul_f32_e32 v16, v6, v16
	v_mul_f32_e32 v18, v6, v18
	v_rndne_f32_e32 v14, v14
	v_and_b32_e32 v7, 0xff, v7
	v_rndne_f32_e32 v10, v10
	v_rndne_f32_e32 v16, v16
	;; [unrolled: 1-line block ×3, first 2 shown]
	v_cmp_nlt_f32_e64 s6, 0x42fe0000, v14
	v_cndmask_b32_e64 v8, 0xc3000000, v8, s1
	v_cmp_nlt_f32_e64 s2, 0x42fe0000, v10
	v_cmp_nlt_f32_e64 s8, 0x42fe0000, v16
	;; [unrolled: 1-line block ×3, first 2 shown]
	s_waitcnt vmcnt(0)
	v_mul_f32_e32 v21, v6, v21
	v_mul_f32_e32 v22, v6, v22
	v_cndmask_b32_e64 v9, 0x42fe0000, v10, s2
	v_cmp_ngt_f32_e64 s2, 0xc3000000, v10
	v_cndmask_b32_e64 v10, 0x42fe0000, v11, s3
	v_cmp_ngt_f32_e64 s3, 0xc3000000, v11
	;; [unrolled: 2-line block ×4, first 2 shown]
	v_cndmask_b32_e64 v10, 0xc3000000, v10, s3
	v_cndmask_b32_e64 v13, 0x42fe0000, v14, s6
	v_cmp_ngt_f32_e64 s6, 0xc3000000, v14
	v_cndmask_b32_e64 v11, 0xc3000000, v11, s4
	v_cndmask_b32_e64 v12, 0xc3000000, v12, s5
	v_cvt_i32_f32_e32 v10, v10
	v_mul_f32_e32 v15, v6, v15
	v_cndmask_b32_e64 v13, 0xc3000000, v13, s6
	v_cvt_i32_f32_e32 v11, v11
	v_cvt_i32_f32_e32 v12, v12
	v_dual_mul_f32 v17, v6, v17 :: v_dual_and_b32 v10, 0xff, v10
	v_rndne_f32_e32 v15, v15
	v_cvt_i32_f32_e32 v13, v13
	s_delay_alu instid0(VALU_DEP_4)
	v_and_b32_e32 v12, 0xff, v12
	v_lshlrev_b16 v11, 8, v11
	v_rndne_f32_e32 v17, v17
	v_cmp_nlt_f32_e64 s7, 0x42fe0000, v15
	v_cvt_i32_f32_e32 v8, v8
	v_mul_f32_e32 v19, v6, v19
	v_lshlrev_b16 v13, 8, v13
	v_cmp_nlt_f32_e64 s9, 0x42fe0000, v17
	v_cndmask_b32_e64 v14, 0x42fe0000, v15, s7
	v_and_b32_e32 v8, 0xff, v8
	v_cmp_ngt_f32_e64 s7, 0xc3000000, v15
	v_cndmask_b32_e64 v15, 0x42fe0000, v16, s8
	v_cmp_ngt_f32_e64 s8, 0xc3000000, v16
	v_cndmask_b32_e64 v16, 0x42fe0000, v17, s9
	;; [unrolled: 2-line block ×4, first 2 shown]
	v_cndmask_b32_e64 v15, 0xc3000000, v15, s8
	v_cndmask_b32_e64 v16, 0xc3000000, v16, s9
	v_or_b32_e32 v10, v10, v11
	v_cndmask_b32_e64 v17, 0xc3000000, v17, s10
	v_cvt_i32_f32_e32 v14, v14
	v_cvt_i32_f32_e32 v15, v15
	;; [unrolled: 1-line block ×3, first 2 shown]
	v_mul_f32_e32 v20, v6, v20
	v_cvt_i32_f32_e32 v17, v17
	v_and_b32_e32 v14, 0xff, v14
	v_lshlrev_b16 v15, 8, v15
	v_and_b32_e32 v16, 0xff, v16
	v_rndne_f32_e32 v19, v19
	v_lshlrev_b16 v17, 8, v17
	v_rndne_f32_e32 v21, v21
	v_or_b32_e32 v14, v14, v15
	v_rndne_f32_e32 v22, v22
	v_or_b32_e32 v11, v12, v13
	v_or_b32_e32 v15, v16, v17
	v_cmp_nlt_f32_e64 s11, 0x42fe0000, v19
	v_and_b32_e32 v13, 0xffff, v14
	v_cmp_nlt_f32_e64 s13, 0x42fe0000, v21
	v_cmp_nlt_f32_e64 s14, 0x42fe0000, v22
	v_lshlrev_b32_e32 v14, 16, v15
	v_and_b32_e32 v15, 0xffff, v10
	v_rndne_f32_e32 v20, v20
	v_cndmask_b32_e64 v18, 0x42fe0000, v19, s11
	v_cmp_ngt_f32_e64 s11, 0xc3000000, v19
	v_cndmask_b32_e64 v9, 0xc3000000, v9, s2
	v_lshlrev_b32_e32 v11, 16, v11
	v_cmp_nlt_f32_e64 s12, 0x42fe0000, v20
	v_cmp_le_i32_e32 vcc_lo, s29, v5
	v_cndmask_b32_e64 v18, 0xc3000000, v18, s11
	v_cvt_i32_f32_e32 v9, v9
	s_delay_alu instid0(VALU_DEP_4)
	v_cndmask_b32_e64 v19, 0x42fe0000, v20, s12
	v_cmp_ngt_f32_e64 s12, 0xc3000000, v20
	v_cndmask_b32_e64 v20, 0x42fe0000, v21, s13
	v_cmp_ngt_f32_e64 s13, 0xc3000000, v21
	;; [unrolled: 2-line block ×3, first 2 shown]
	v_cndmask_b32_e64 v22, 0xc3000000, v24, s0
	v_cndmask_b32_e64 v19, 0xc3000000, v19, s12
	;; [unrolled: 1-line block ×3, first 2 shown]
	v_cvt_i32_f32_e32 v18, v18
	v_cndmask_b32_e64 v21, 0xc3000000, v21, s14
	v_cvt_i32_f32_e32 v22, v22
	v_cvt_i32_f32_e32 v19, v19
	;; [unrolled: 1-line block ×3, first 2 shown]
	v_and_b32_e32 v18, 0xff, v18
	v_cvt_i32_f32_e32 v21, v21
	v_lshlrev_b16 v22, 8, v22
	v_lshlrev_b16 v19, 8, v19
	v_and_b32_e32 v20, 0xff, v20
	v_lshlrev_b16 v9, 8, v9
	v_lshlrev_b16 v21, 8, v21
	v_or_b32_e32 v7, v7, v22
	v_or_b32_e32 v18, v18, v19
	s_or_b32 s33, vcc_lo, s33
	v_or_b32_e32 v8, v8, v9
	v_or_b32_e32 v19, v20, v21
	v_and_b32_e32 v7, 0xffff, v7
	v_and_b32_e32 v9, 0xffff, v18
	s_delay_alu instid0(VALU_DEP_4) | instskip(NEXT) | instid1(VALU_DEP_4)
	v_lshlrev_b32_e32 v16, 16, v8
	v_lshlrev_b32_e32 v12, 16, v19
	v_or_b32_e32 v8, v15, v11
	s_delay_alu instid0(VALU_DEP_3) | instskip(NEXT) | instid1(VALU_DEP_3)
	v_or_b32_e32 v7, v7, v16
	v_or_b32_e32 v10, v9, v12
	;; [unrolled: 1-line block ×3, first 2 shown]
	global_store_b128 v[1:2], v[7:10], off
	v_add_co_u32 v1, s0, v1, s31
	s_delay_alu instid0(VALU_DEP_1)
	v_add_co_ci_u32_e64 v2, s0, 0, v2, s0
	s_and_not1_b32 exec_lo, exec_lo, s33
	s_cbranch_execnz .LBB6_32
.LBB6_33:
	s_or_b32 exec_lo, exec_lo, s30
	v_lshl_add_u32 v1, s29, 4, v0
	s_mov_b32 s1, exec_lo
	s_delay_alu instid0(VALU_DEP_1)
	v_cmpx_gt_i32_e64 s28, v1
	s_cbranch_execz .LBB6_36
; %bb.34:
	v_ashrrev_i32_e32 v2, 31, v1
	s_lshl_b64 s[2:3], s[24:25], 2
	s_mov_b32 s5, 0
	s_add_u32 s0, s18, s2
	s_addc_u32 s2, s19, s3
	v_lshlrev_b64 v[3:4], 2, v[1:2]
	s_add_u32 s0, s16, s0
	s_addc_u32 s2, s17, s2
	s_lshl_b32 s4, s26, 2
	s_delay_alu instid0(VALU_DEP_1)
	v_add_co_u32 v3, vcc_lo, s0, v3
	s_add_u32 s0, s24, s20
	v_add_co_ci_u32_e32 v4, vcc_lo, s2, v4, vcc_lo
	s_addc_u32 s2, s25, s21
	s_add_u32 s0, s22, s0
	s_addc_u32 s2, s23, s2
	v_add_co_u32 v5, vcc_lo, s0, v1
	v_add_co_ci_u32_e32 v2, vcc_lo, s2, v2, vcc_lo
	s_mov_b64 s[2:3], 0
	.p2align	6
.LBB6_35:                               ; =>This Inner Loop Header: Depth=1
	global_load_b32 v7, v[3:4], off
	s_waitcnt vmcnt(0)
	v_mul_f32_e32 v7, v6, v7
	s_delay_alu instid0(VALU_DEP_1) | instskip(SKIP_2) | instid1(VALU_DEP_3)
	v_rndne_f32_e32 v9, v7
	v_add_co_u32 v7, vcc_lo, v5, s2
	v_add_co_ci_u32_e32 v8, vcc_lo, s3, v2, vcc_lo
	v_cmp_nlt_f32_e64 s0, 0x42fe0000, v9
	v_cmp_ngt_f32_e32 vcc_lo, 0xc3000000, v9
	s_add_u32 s2, s2, s26
	s_addc_u32 s3, s3, 0
	v_add_nc_u32_e32 v11, s2, v1
	v_cndmask_b32_e64 v10, 0x42fe0000, v9, s0
	s_delay_alu instid0(VALU_DEP_2) | instskip(NEXT) | instid1(VALU_DEP_2)
	v_cmp_le_i32_e64 s0, s28, v11
	v_cndmask_b32_e32 v9, 0xc3000000, v10, vcc_lo
	v_add_co_u32 v3, vcc_lo, v3, s4
	v_add_co_ci_u32_e32 v4, vcc_lo, 0, v4, vcc_lo
	s_delay_alu instid0(VALU_DEP_3)
	v_cvt_i32_f32_e32 v9, v9
	s_or_b32 s5, s0, s5
	global_store_b8 v[7:8], v9, off
	s_and_not1_b32 exec_lo, exec_lo, s5
	s_cbranch_execnz .LBB6_35
.LBB6_36:
	s_or_b32 exec_lo, exec_lo, s1
	s_mov_b32 s0, 0
.LBB6_37:
	s_delay_alu instid0(SALU_CYCLE_1)
	s_and_b32 vcc_lo, exec_lo, s0
	s_cbranch_vccz .LBB6_41
; %bb.38:
	s_ashr_i32 s24, s27, 4
	s_mov_b32 s0, exec_lo
	v_cmpx_gt_i32_e64 s24, v0
	s_cbranch_execz .LBB6_41
; %bb.39:
	v_lshlrev_b32_e32 v1, 4, v0
	s_add_u32 s0, s22, s20
	v_lshlrev_b32_e32 v3, 6, v0
	s_addc_u32 s1, s23, s21
	s_lshl_b32 s20, s26, 4
	v_add_co_u32 v1, s0, s0, v1
	s_delay_alu instid0(VALU_DEP_1) | instskip(SKIP_3) | instid1(VALU_DEP_1)
	v_add_co_ci_u32_e64 v2, null, s1, 0, s0
	s_add_u32 s0, s16, s18
	s_addc_u32 s1, s17, s19
	v_add_co_u32 v3, s0, s0, v3
	v_add_co_ci_u32_e64 v4, null, s1, 0, s0
	s_mov_b32 s16, 0
	s_lshl_b32 s17, s26, 6
.LBB6_40:                               ; =>This Inner Loop Header: Depth=1
	s_clause 0x3
	global_load_b128 v[7:10], v[3:4], off
	global_load_b128 v[11:14], v[3:4], off offset:16
	global_load_b128 v[15:18], v[3:4], off offset:32
	;; [unrolled: 1-line block ×3, first 2 shown]
	v_add_nc_u32_e32 v0, s26, v0
	v_add_co_u32 v3, vcc_lo, v3, s17
	v_add_co_ci_u32_e32 v4, vcc_lo, 0, v4, vcc_lo
	s_waitcnt vmcnt(3)
	v_mul_f32_e32 v5, v6, v7
	v_mul_f32_e32 v7, v6, v8
	;; [unrolled: 1-line block ×4, first 2 shown]
	s_waitcnt vmcnt(2)
	v_mul_f32_e32 v10, v6, v11
	v_mul_f32_e32 v11, v6, v12
	;; [unrolled: 1-line block ×3, first 2 shown]
	v_rndne_f32_e32 v5, v5
	v_rndne_f32_e32 v7, v7
	;; [unrolled: 1-line block ×7, first 2 shown]
	v_cmp_nlt_f32_e64 s0, 0x42fe0000, v5
	v_mul_f32_e32 v13, v6, v14
	s_waitcnt vmcnt(1)
	v_mul_f32_e32 v14, v6, v15
	v_mul_f32_e32 v15, v6, v16
	;; [unrolled: 1-line block ×4, first 2 shown]
	s_waitcnt vmcnt(0)
	v_mul_f32_e32 v18, v6, v19
	v_mul_f32_e32 v19, v6, v20
	;; [unrolled: 1-line block ×4, first 2 shown]
	v_cndmask_b32_e64 v22, 0x42fe0000, v5, s0
	v_cmp_nlt_f32_e64 s0, 0x42fe0000, v7
	v_cmp_nlt_f32_e64 s1, 0x42fe0000, v8
	;; [unrolled: 1-line block ×6, first 2 shown]
	v_cndmask_b32_e64 v23, 0x42fe0000, v7, s0
	v_cmp_ngt_f32_e64 s0, 0xc3000000, v7
	v_cndmask_b32_e64 v7, 0x42fe0000, v8, s1
	v_cmp_ngt_f32_e64 s1, 0xc3000000, v8
	;; [unrolled: 2-line block ×6, first 2 shown]
	v_cndmask_b32_e64 v7, 0xc3000000, v7, s1
	v_cndmask_b32_e64 v9, 0xc3000000, v9, s3
	v_rndne_f32_e32 v13, v13
	v_rndne_f32_e32 v14, v14
	v_cndmask_b32_e64 v11, 0xc3000000, v11, s5
	v_cvt_i32_f32_e32 v7, v7
	v_cvt_i32_f32_e32 v9, v9
	v_rndne_f32_e32 v15, v15
	v_rndne_f32_e32 v17, v17
	v_cvt_i32_f32_e32 v11, v11
	v_and_b32_e32 v7, 0xff, v7
	v_rndne_f32_e32 v19, v19
	v_rndne_f32_e32 v20, v20
	;; [unrolled: 1-line block ×3, first 2 shown]
	v_and_b32_e32 v9, 0xff, v9
	v_rndne_f32_e32 v18, v18
	v_and_b32_e32 v11, 0xff, v11
	v_rndne_f32_e32 v16, v16
	v_cmp_nlt_f32_e64 s6, 0x42fe0000, v13
	v_cmp_nlt_f32_e64 s7, 0x42fe0000, v14
	;; [unrolled: 1-line block ×9, first 2 shown]
	v_cndmask_b32_e64 v12, 0x42fe0000, v13, s6
	v_cmp_ngt_f32_e64 s6, 0xc3000000, v13
	v_cndmask_b32_e64 v13, 0x42fe0000, v14, s7
	v_cmp_ngt_f32_e64 s7, 0xc3000000, v14
	v_cndmask_b32_e64 v14, 0x42fe0000, v15, s8
	v_cmp_ngt_f32_e64 s8, 0xc3000000, v15
	v_cndmask_b32_e64 v15, 0x42fe0000, v16, s9
	v_cmp_ngt_f32_e64 s9, 0xc3000000, v16
	v_cndmask_b32_e64 v16, 0x42fe0000, v17, s10
	v_cmp_ngt_f32_e64 s10, 0xc3000000, v17
	v_cndmask_b32_e64 v17, 0x42fe0000, v18, s11
	v_cmp_ngt_f32_e64 s11, 0xc3000000, v18
	v_cndmask_b32_e64 v18, 0x42fe0000, v19, s12
	v_cmp_ngt_f32_e64 s12, 0xc3000000, v19
	v_cndmask_b32_e64 v19, 0x42fe0000, v20, s13
	v_cmp_ngt_f32_e64 s13, 0xc3000000, v20
	v_cndmask_b32_e64 v20, 0x42fe0000, v21, s14
	v_cmp_ngt_f32_e64 s14, 0xc3000000, v21
	v_cmp_ngt_f32_e64 s15, 0xc3000000, v5
	v_cndmask_b32_e64 v21, 0xc3000000, v23, s0
	v_cndmask_b32_e64 v8, 0xc3000000, v8, s2
	;; [unrolled: 1-line block ×13, first 2 shown]
	v_cvt_i32_f32_e32 v5, v5
	v_cvt_i32_f32_e32 v21, v21
	;; [unrolled: 1-line block ×13, first 2 shown]
	v_lshlrev_b16 v18, 8, v18
	v_and_b32_e32 v17, 0xff, v17
	v_lshlrev_b16 v20, 8, v20
	v_and_b32_e32 v19, 0xff, v19
	v_lshlrev_b16 v14, 8, v14
	v_and_b32_e32 v13, 0xff, v13
	v_lshlrev_b16 v16, 8, v16
	v_and_b32_e32 v15, 0xff, v15
	v_lshlrev_b16 v10, 8, v10
	v_lshlrev_b16 v12, 8, v12
	;; [unrolled: 1-line block ×3, first 2 shown]
	v_and_b32_e32 v5, 0xff, v5
	v_lshlrev_b16 v8, 8, v8
	v_or_b32_e32 v17, v17, v18
	v_or_b32_e32 v18, v19, v20
	;; [unrolled: 1-line block ×8, first 2 shown]
	v_and_b32_e32 v8, 0xffff, v17
	v_lshlrev_b32_e32 v11, 16, v18
	v_and_b32_e32 v12, 0xffff, v13
	v_lshlrev_b32_e32 v13, 16, v14
	;; [unrolled: 2-line block ×4, first 2 shown]
	v_or_b32_e32 v10, v8, v11
	v_or_b32_e32 v9, v12, v13
	;; [unrolled: 1-line block ×3, first 2 shown]
	v_cmp_le_i32_e32 vcc_lo, s24, v0
	v_or_b32_e32 v7, v5, v7
	s_or_b32 s16, vcc_lo, s16
	global_store_b128 v[1:2], v[7:10], off
	v_add_co_u32 v1, s0, v1, s20
	s_delay_alu instid0(VALU_DEP_1)
	v_add_co_ci_u32_e64 v2, s0, 0, v2, s0
	s_and_not1_b32 exec_lo, exec_lo, s16
	s_cbranch_execnz .LBB6_40
.LBB6_41:
	s_nop 0
	s_sendmsg sendmsg(MSG_DEALLOC_VGPRS)
	s_endpgm
	.section	.rodata,"a",@progbits
	.p2align	6, 0x0
	.amdhsa_kernel _ZN4vllm32dynamic_scaled_int8_quant_kernelIffEEvPKT_PaPT0_i
		.amdhsa_group_segment_fixed_size 36
		.amdhsa_private_segment_fixed_size 0
		.amdhsa_kernarg_size 288
		.amdhsa_user_sgpr_count 15
		.amdhsa_user_sgpr_dispatch_ptr 0
		.amdhsa_user_sgpr_queue_ptr 0
		.amdhsa_user_sgpr_kernarg_segment_ptr 1
		.amdhsa_user_sgpr_dispatch_id 0
		.amdhsa_user_sgpr_private_segment_size 0
		.amdhsa_wavefront_size32 1
		.amdhsa_uses_dynamic_stack 0
		.amdhsa_enable_private_segment 0
		.amdhsa_system_sgpr_workgroup_id_x 1
		.amdhsa_system_sgpr_workgroup_id_y 0
		.amdhsa_system_sgpr_workgroup_id_z 0
		.amdhsa_system_sgpr_workgroup_info 0
		.amdhsa_system_vgpr_workitem_id 0
		.amdhsa_next_free_vgpr 25
		.amdhsa_next_free_sgpr 35
		.amdhsa_reserve_vcc 1
		.amdhsa_float_round_mode_32 0
		.amdhsa_float_round_mode_16_64 0
		.amdhsa_float_denorm_mode_32 3
		.amdhsa_float_denorm_mode_16_64 3
		.amdhsa_dx10_clamp 1
		.amdhsa_ieee_mode 1
		.amdhsa_fp16_overflow 0
		.amdhsa_workgroup_processor_mode 1
		.amdhsa_memory_ordered 1
		.amdhsa_forward_progress 0
		.amdhsa_shared_vgpr_count 0
		.amdhsa_exception_fp_ieee_invalid_op 0
		.amdhsa_exception_fp_denorm_src 0
		.amdhsa_exception_fp_ieee_div_zero 0
		.amdhsa_exception_fp_ieee_overflow 0
		.amdhsa_exception_fp_ieee_underflow 0
		.amdhsa_exception_fp_ieee_inexact 0
		.amdhsa_exception_int_div_zero 0
	.end_amdhsa_kernel
	.section	.text._ZN4vllm32dynamic_scaled_int8_quant_kernelIffEEvPKT_PaPT0_i,"axG",@progbits,_ZN4vllm32dynamic_scaled_int8_quant_kernelIffEEvPKT_PaPT0_i,comdat
.Lfunc_end6:
	.size	_ZN4vllm32dynamic_scaled_int8_quant_kernelIffEEvPKT_PaPT0_i, .Lfunc_end6-_ZN4vllm32dynamic_scaled_int8_quant_kernelIffEEvPKT_PaPT0_i
                                        ; -- End function
	.section	.AMDGPU.csdata,"",@progbits
; Kernel info:
; codeLenInByte = 5512
; NumSgprs: 37
; NumVgprs: 25
; ScratchSize: 0
; MemoryBound: 0
; FloatMode: 240
; IeeeMode: 1
; LDSByteSize: 36 bytes/workgroup (compile time only)
; SGPRBlocks: 4
; VGPRBlocks: 3
; NumSGPRsForWavesPerEU: 37
; NumVGPRsForWavesPerEU: 25
; Occupancy: 16
; WaveLimiterHint : 0
; COMPUTE_PGM_RSRC2:SCRATCH_EN: 0
; COMPUTE_PGM_RSRC2:USER_SGPR: 15
; COMPUTE_PGM_RSRC2:TRAP_HANDLER: 0
; COMPUTE_PGM_RSRC2:TGID_X_EN: 1
; COMPUTE_PGM_RSRC2:TGID_Y_EN: 0
; COMPUTE_PGM_RSRC2:TGID_Z_EN: 0
; COMPUTE_PGM_RSRC2:TIDIG_COMP_CNT: 0
	.section	.text._ZN4vllm36dynamic_scaled_int8_azp_quant_kernelIffiEEvPKT_PaPT0_PT1_i,"axG",@progbits,_ZN4vllm36dynamic_scaled_int8_azp_quant_kernelIffiEEvPKT_PaPT0_PT1_i,comdat
	.protected	_ZN4vllm36dynamic_scaled_int8_azp_quant_kernelIffiEEvPKT_PaPT0_PT1_i ; -- Begin function _ZN4vllm36dynamic_scaled_int8_azp_quant_kernelIffiEEvPKT_PaPT0_PT1_i
	.globl	_ZN4vllm36dynamic_scaled_int8_azp_quant_kernelIffiEEvPKT_PaPT0_PT1_i
	.p2align	8
	.type	_ZN4vllm36dynamic_scaled_int8_azp_quant_kernelIffiEEvPKT_PaPT0_PT1_i,@function
_ZN4vllm36dynamic_scaled_int8_azp_quant_kernelIffiEEvPKT_PaPT0_PT1_i: ; @_ZN4vllm36dynamic_scaled_int8_azp_quant_kernelIffiEEvPKT_PaPT0_PT1_i
; %bb.0:
	s_mov_b32 s10, s15
	s_clause 0x2
	s_load_b32 s15, s[0:1], 0x20
	s_load_b64 s[4:5], s[0:1], 0x0
	s_load_b32 s12, s[0:1], 0x34
	s_mov_b32 s11, 0
	s_waitcnt lgkmcnt(0)
	s_ashr_i32 s2, s15, 31
	s_mul_hi_u32 s3, s15, s10
	s_mul_i32 s2, s2, s10
	s_mul_i32 s8, s15, s10
	s_add_i32 s9, s3, s2
	s_mov_b32 s3, s11
	s_lshl_b64 s[6:7], s[8:9], 2
	s_and_b32 s14, s12, 0xffff
	s_add_u32 s16, s4, s6
	s_delay_alu instid0(SALU_CYCLE_1) | instskip(NEXT) | instid1(SALU_CYCLE_1)
	s_and_b32 s2, s16, 63
	s_cmp_lg_u64 s[2:3], 0
	s_cselect_b32 s2, -1, 0
	s_and_b32 s3, s15, 15
	s_delay_alu instid0(SALU_CYCLE_1) | instskip(SKIP_1) | instid1(SALU_CYCLE_1)
	s_cmp_lg_u32 s3, 0
	s_cselect_b32 s3, -1, 0
	s_or_b32 s17, s3, s2
	s_delay_alu instid0(SALU_CYCLE_1)
	s_and_b32 vcc_lo, exec_lo, s17
	s_cbranch_vccz .LBB7_14
; %bb.1:
	s_sub_i32 s2, 0, s16
	v_mov_b32_e32 v1, 0x7f7fffff
	v_mov_b32_e32 v2, 0xff7fffff
	s_bfe_u32 s2, s2, 0x40002
	s_mov_b32 s3, exec_lo
	s_min_i32 s12, s2, s15
	s_delay_alu instid0(SALU_CYCLE_1)
	v_cmpx_gt_i32_e64 s12, v0
	s_cbranch_execz .LBB7_5
; %bb.2:
	v_dual_mov_b32 v2, 0xff7fffff :: v_dual_lshlrev_b32 v1, 2, v0
	s_add_u32 s2, s4, s6
	s_addc_u32 s13, s5, s7
	v_mov_b32_e32 v5, v0
	s_delay_alu instid0(VALU_DEP_2) | instskip(NEXT) | instid1(VALU_DEP_1)
	v_add_co_u32 v3, s2, s2, v1
	v_add_co_ci_u32_e64 v4, null, s13, 0, s2
	v_mov_b32_e32 v1, 0x7f7fffff
	s_mov_b32 s13, 0
	s_lshl_b32 s18, s14, 2
.LBB7_3:                                ; =>This Inner Loop Header: Depth=1
	global_load_b32 v6, v[3:4], off
	v_add_nc_u32_e32 v5, s14, v5
	v_dual_max_f32 v1, v1, v1 :: v_dual_max_f32 v2, v2, v2
	v_add_co_u32 v3, vcc_lo, v3, s18
	v_add_co_ci_u32_e32 v4, vcc_lo, 0, v4, vcc_lo
	s_waitcnt vmcnt(0)
	v_max_f32_e32 v6, v6, v6
	v_cmp_le_i32_e64 s2, s12, v5
	s_delay_alu instid0(VALU_DEP_2) | instskip(SKIP_1) | instid1(VALU_DEP_3)
	v_min_f32_e32 v1, v1, v6
	v_max_f32_e32 v2, v2, v6
	s_or_b32 s13, s2, s13
	s_delay_alu instid0(SALU_CYCLE_1)
	s_and_not1_b32 exec_lo, exec_lo, s13
	s_cbranch_execnz .LBB7_3
; %bb.4:
	s_or_b32 exec_lo, exec_lo, s13
.LBB7_5:
	s_delay_alu instid0(SALU_CYCLE_1)
	s_or_b32 exec_lo, exec_lo, s3
	s_sub_i32 s3, s15, s12
	s_ashr_i32 s13, s12, 31
	s_ashr_i32 s2, s3, 31
	s_mov_b32 s19, exec_lo
	s_lshr_b32 s2, s2, 28
	s_delay_alu instid0(SALU_CYCLE_1) | instskip(NEXT) | instid1(SALU_CYCLE_1)
	s_add_i32 s2, s3, s2
	s_ashr_i32 s18, s2, 4
	s_delay_alu instid0(SALU_CYCLE_1)
	v_cmpx_gt_i32_e64 s18, v0
	s_cbranch_execz .LBB7_9
; %bb.6:
	s_lshl_b64 s[20:21], s[12:13], 2
	v_lshlrev_b32_e32 v3, 6, v0
	s_add_u32 s2, s4, s20
	s_addc_u32 s20, s5, s21
	s_add_u32 s2, s2, s6
	s_addc_u32 s20, s20, s7
	v_add_co_u32 v3, s2, s2, v3
	s_delay_alu instid0(VALU_DEP_1)
	v_add_co_ci_u32_e64 v4, null, s20, 0, s2
	v_mov_b32_e32 v5, v0
	s_mov_b32 s20, 0
	s_lshl_b32 s21, s14, 6
.LBB7_7:                                ; =>This Inner Loop Header: Depth=1
	s_clause 0x3
	global_load_b128 v[6:9], v[3:4], off
	global_load_b128 v[10:13], v[3:4], off offset:16
	global_load_b128 v[14:17], v[3:4], off offset:32
	;; [unrolled: 1-line block ×3, first 2 shown]
	v_add_nc_u32_e32 v5, s14, v5
	v_add_co_u32 v3, vcc_lo, v3, s21
	v_add_co_ci_u32_e32 v4, vcc_lo, 0, v4, vcc_lo
	s_delay_alu instid0(VALU_DEP_3) | instskip(NEXT) | instid1(VALU_DEP_1)
	v_cmp_le_i32_e64 s2, s18, v5
	s_or_b32 s20, s2, s20
	s_waitcnt vmcnt(3)
	v_min3_f32 v1, v1, v6, v7
	v_max3_f32 v2, v2, v6, v7
	s_delay_alu instid0(VALU_DEP_2) | instskip(NEXT) | instid1(VALU_DEP_2)
	v_min3_f32 v1, v1, v8, v9
	v_max3_f32 v2, v2, v8, v9
	s_waitcnt vmcnt(2)
	s_delay_alu instid0(VALU_DEP_2) | instskip(NEXT) | instid1(VALU_DEP_2)
	v_min3_f32 v1, v1, v10, v11
	v_max3_f32 v2, v2, v10, v11
	s_delay_alu instid0(VALU_DEP_2) | instskip(NEXT) | instid1(VALU_DEP_2)
	v_min3_f32 v1, v1, v12, v13
	v_max3_f32 v2, v2, v12, v13
	s_waitcnt vmcnt(1)
	s_delay_alu instid0(VALU_DEP_2) | instskip(NEXT) | instid1(VALU_DEP_2)
	;; [unrolled: 7-line block ×3, first 2 shown]
	v_min3_f32 v1, v1, v18, v19
	v_max3_f32 v2, v2, v18, v19
	s_delay_alu instid0(VALU_DEP_2) | instskip(NEXT) | instid1(VALU_DEP_2)
	v_min3_f32 v1, v1, v20, v21
	v_max3_f32 v2, v2, v20, v21
	s_and_not1_b32 exec_lo, exec_lo, s20
	s_cbranch_execnz .LBB7_7
; %bb.8:
	s_or_b32 exec_lo, exec_lo, s20
.LBB7_9:
	s_delay_alu instid0(SALU_CYCLE_1) | instskip(SKIP_2) | instid1(VALU_DEP_1)
	s_or_b32 exec_lo, exec_lo, s19
	v_lshl_add_u32 v3, s18, 4, v0
	s_mov_b32 s18, exec_lo
	v_cmpx_gt_i32_e64 s3, v3
	s_cbranch_execz .LBB7_13
; %bb.10:
	v_ashrrev_i32_e32 v4, 31, v3
	s_lshl_b64 s[12:13], s[12:13], 2
	s_delay_alu instid0(SALU_CYCLE_1) | instskip(SKIP_1) | instid1(VALU_DEP_1)
	s_add_u32 s2, s6, s12
	s_addc_u32 s12, s7, s13
	v_lshlrev_b64 v[4:5], 2, v[3:4]
	s_add_u32 s2, s4, s2
	s_addc_u32 s12, s5, s12
	s_lshl_b32 s13, s14, 2
	s_delay_alu instid0(VALU_DEP_1) | instskip(NEXT) | instid1(VALU_DEP_2)
	v_add_co_u32 v4, vcc_lo, s2, v4
	v_add_co_ci_u32_e32 v5, vcc_lo, s12, v5, vcc_lo
	s_mov_b32 s12, 0
.LBB7_11:                               ; =>This Inner Loop Header: Depth=1
	global_load_b32 v6, v[4:5], off
	v_add_nc_u32_e32 v3, s14, v3
	v_dual_max_f32 v1, v1, v1 :: v_dual_max_f32 v2, v2, v2
	v_add_co_u32 v4, vcc_lo, v4, s13
	v_add_co_ci_u32_e32 v5, vcc_lo, 0, v5, vcc_lo
	s_waitcnt vmcnt(0)
	v_max_f32_e32 v6, v6, v6
	v_cmp_le_i32_e64 s2, s3, v3
	s_delay_alu instid0(VALU_DEP_2) | instskip(SKIP_1) | instid1(VALU_DEP_3)
	v_min_f32_e32 v1, v1, v6
	v_max_f32_e32 v2, v2, v6
	s_or_b32 s12, s2, s12
	s_delay_alu instid0(SALU_CYCLE_1)
	s_and_not1_b32 exec_lo, exec_lo, s12
	s_cbranch_execnz .LBB7_11
; %bb.12:
	s_or_b32 exec_lo, exec_lo, s12
.LBB7_13:
	s_delay_alu instid0(SALU_CYCLE_1)
	s_or_b32 exec_lo, exec_lo, s18
	s_branch .LBB7_20
.LBB7_14:
                                        ; implicit-def: $vgpr1
	s_cbranch_execz .LBB7_20
; %bb.15:
	v_mov_b32_e32 v1, 0x7f7fffff
	v_mov_b32_e32 v2, 0xff7fffff
	s_ashr_i32 s3, s15, 4
	s_mov_b32 s12, exec_lo
	v_cmpx_gt_i32_e64 s3, v0
	s_cbranch_execz .LBB7_19
; %bb.16:
	v_dual_mov_b32 v2, 0xff7fffff :: v_dual_lshlrev_b32 v1, 6, v0
	s_add_u32 s2, s4, s6
	s_addc_u32 s13, s5, s7
	v_mov_b32_e32 v5, v0
	s_delay_alu instid0(VALU_DEP_2) | instskip(NEXT) | instid1(VALU_DEP_1)
	v_add_co_u32 v3, s2, s2, v1
	v_add_co_ci_u32_e64 v4, null, s13, 0, s2
	v_mov_b32_e32 v1, 0x7f7fffff
	s_mov_b32 s13, 0
	s_lshl_b32 s18, s14, 6
.LBB7_17:                               ; =>This Inner Loop Header: Depth=1
	s_clause 0x3
	global_load_b128 v[6:9], v[3:4], off
	global_load_b128 v[10:13], v[3:4], off offset:16
	global_load_b128 v[14:17], v[3:4], off offset:32
	;; [unrolled: 1-line block ×3, first 2 shown]
	v_add_nc_u32_e32 v5, s14, v5
	v_add_co_u32 v3, vcc_lo, v3, s18
	v_add_co_ci_u32_e32 v4, vcc_lo, 0, v4, vcc_lo
	s_delay_alu instid0(VALU_DEP_3) | instskip(NEXT) | instid1(VALU_DEP_1)
	v_cmp_le_i32_e64 s2, s3, v5
	s_or_b32 s13, s2, s13
	s_waitcnt vmcnt(3)
	v_min3_f32 v1, v1, v6, v7
	v_max3_f32 v2, v2, v6, v7
	s_delay_alu instid0(VALU_DEP_2) | instskip(NEXT) | instid1(VALU_DEP_2)
	v_min3_f32 v1, v1, v8, v9
	v_max3_f32 v2, v2, v8, v9
	s_waitcnt vmcnt(2)
	s_delay_alu instid0(VALU_DEP_2) | instskip(NEXT) | instid1(VALU_DEP_2)
	v_min3_f32 v1, v1, v10, v11
	v_max3_f32 v2, v2, v10, v11
	s_delay_alu instid0(VALU_DEP_2) | instskip(NEXT) | instid1(VALU_DEP_2)
	v_min3_f32 v1, v1, v12, v13
	v_max3_f32 v2, v2, v12, v13
	s_waitcnt vmcnt(1)
	s_delay_alu instid0(VALU_DEP_2) | instskip(NEXT) | instid1(VALU_DEP_2)
	;; [unrolled: 7-line block ×3, first 2 shown]
	v_min3_f32 v1, v1, v18, v19
	v_max3_f32 v2, v2, v18, v19
	s_delay_alu instid0(VALU_DEP_2) | instskip(NEXT) | instid1(VALU_DEP_2)
	v_min3_f32 v1, v1, v20, v21
	v_max3_f32 v2, v2, v20, v21
	s_and_not1_b32 exec_lo, exec_lo, s13
	s_cbranch_execnz .LBB7_17
; %bb.18:
	s_or_b32 exec_lo, exec_lo, s13
.LBB7_19:
	s_delay_alu instid0(SALU_CYCLE_1)
	s_or_b32 exec_lo, exec_lo, s12
.LBB7_20:
	v_mbcnt_lo_u32_b32 v3, -1, 0
	s_mov_b32 s2, exec_lo
	s_delay_alu instid0(VALU_DEP_1) | instskip(SKIP_2) | instid1(VALU_DEP_1)
	v_cmp_ne_u32_e32 vcc_lo, 31, v3
	v_add_nc_u32_e32 v7, 1, v3
	v_add_co_ci_u32_e32 v4, vcc_lo, 0, v3, vcc_lo
	v_lshlrev_b32_e32 v4, 2, v4
	ds_bpermute_b32 v6, v4, v1
	ds_bpermute_b32 v5, v4, v2
	v_and_b32_e32 v4, 0x3e0, v0
	s_delay_alu instid0(VALU_DEP_1) | instskip(NEXT) | instid1(VALU_DEP_1)
	v_sub_nc_u32_e64 v4, s14, v4 clamp
	v_cmpx_lt_u32_e64 v7, v4
	s_cbranch_execz .LBB7_22
; %bb.21:
	s_waitcnt lgkmcnt(1)
	v_dual_max_f32 v6, v6, v6 :: v_dual_max_f32 v1, v1, v1
	s_waitcnt lgkmcnt(0)
	v_dual_max_f32 v5, v5, v5 :: v_dual_max_f32 v2, v2, v2
	s_delay_alu instid0(VALU_DEP_1)
	v_dual_min_f32 v1, v1, v6 :: v_dual_max_f32 v2, v2, v5
.LBB7_22:
	s_or_b32 exec_lo, exec_lo, s2
	v_cmp_gt_u32_e32 vcc_lo, 30, v3
	v_add_nc_u32_e32 v7, 2, v3
	s_mov_b32 s2, exec_lo
	s_waitcnt lgkmcnt(0)
	v_cndmask_b32_e64 v5, 0, 1, vcc_lo
	s_delay_alu instid0(VALU_DEP_1) | instskip(NEXT) | instid1(VALU_DEP_1)
	v_lshlrev_b32_e32 v5, 1, v5
	v_add_lshl_u32 v5, v5, v3, 2
	ds_bpermute_b32 v6, v5, v1
	ds_bpermute_b32 v5, v5, v2
	v_cmpx_lt_u32_e64 v7, v4
	s_cbranch_execz .LBB7_24
; %bb.23:
	s_waitcnt lgkmcnt(1)
	v_dual_max_f32 v6, v6, v6 :: v_dual_max_f32 v1, v1, v1
	s_waitcnt lgkmcnt(0)
	v_dual_max_f32 v5, v5, v5 :: v_dual_max_f32 v2, v2, v2
	s_delay_alu instid0(VALU_DEP_1)
	v_dual_min_f32 v1, v1, v6 :: v_dual_max_f32 v2, v2, v5
.LBB7_24:
	s_or_b32 exec_lo, exec_lo, s2
	v_cmp_gt_u32_e32 vcc_lo, 28, v3
	v_add_nc_u32_e32 v7, 4, v3
	s_mov_b32 s2, exec_lo
	s_waitcnt lgkmcnt(0)
	v_cndmask_b32_e64 v5, 0, 1, vcc_lo
	s_delay_alu instid0(VALU_DEP_1) | instskip(NEXT) | instid1(VALU_DEP_1)
	v_lshlrev_b32_e32 v5, 2, v5
	v_add_lshl_u32 v5, v5, v3, 2
	ds_bpermute_b32 v6, v5, v1
	ds_bpermute_b32 v5, v5, v2
	;; [unrolled: 21-line block ×4, first 2 shown]
	v_cmpx_lt_u32_e64 v7, v4
	s_cbranch_execz .LBB7_30
; %bb.29:
	s_waitcnt lgkmcnt(1)
	v_dual_max_f32 v4, v6, v6 :: v_dual_max_f32 v1, v1, v1
	s_waitcnt lgkmcnt(0)
	v_dual_max_f32 v5, v5, v5 :: v_dual_max_f32 v2, v2, v2
	s_delay_alu instid0(VALU_DEP_1)
	v_dual_min_f32 v1, v1, v4 :: v_dual_max_f32 v2, v2, v5
.LBB7_30:
	s_or_b32 exec_lo, exec_lo, s2
	s_delay_alu instid0(SALU_CYCLE_1)
	s_mov_b32 s2, exec_lo
	v_cmpx_eq_u32_e32 0, v3
	s_cbranch_execz .LBB7_32
; %bb.31:
	v_lshrrev_b32_e32 v4, 2, v0
	s_delay_alu instid0(VALU_DEP_1)
	v_and_b32_e32 v4, 0xf8, v4
	ds_store_2addr_b32 v4, v1, v2 offset1:1
.LBB7_32:
	s_or_b32 exec_lo, exec_lo, s2
	s_load_b64 s[2:3], s[0:1], 0x8
	s_mov_b32 s12, exec_lo
	s_waitcnt lgkmcnt(0)
	s_barrier
	buffer_gl0_inv
	v_cmpx_gt_u32_e32 8, v0
	s_cbranch_execz .LBB7_40
; %bb.33:
	v_lshlrev_b32_e32 v1, 3, v3
	v_and_b32_e32 v4, 7, v3
	s_add_i32 s13, s14, 31
	s_mov_b32 s18, exec_lo
	s_lshr_b32 s13, s13, 5
	ds_load_2addr_b32 v[1:2], v1 offset1:1
	v_cmp_ne_u32_e32 vcc_lo, 7, v4
	v_add_nc_u32_e32 v7, 1, v4
	v_add_co_ci_u32_e32 v5, vcc_lo, 0, v3, vcc_lo
	s_delay_alu instid0(VALU_DEP_1)
	v_lshlrev_b32_e32 v5, 2, v5
	s_waitcnt lgkmcnt(0)
	ds_bpermute_b32 v6, v5, v1
	ds_bpermute_b32 v5, v5, v2
	v_cmpx_gt_u32_e64 s13, v7
	s_cbranch_execz .LBB7_35
; %bb.34:
	s_waitcnt lgkmcnt(1)
	v_dual_max_f32 v6, v6, v6 :: v_dual_max_f32 v1, v1, v1
	s_waitcnt lgkmcnt(0)
	v_dual_max_f32 v5, v5, v5 :: v_dual_max_f32 v2, v2, v2
	s_delay_alu instid0(VALU_DEP_1)
	v_dual_min_f32 v1, v1, v6 :: v_dual_max_f32 v2, v2, v5
.LBB7_35:
	s_or_b32 exec_lo, exec_lo, s18
	v_cmp_gt_u32_e32 vcc_lo, 6, v4
	v_add_nc_u32_e32 v7, 2, v4
	s_mov_b32 s18, exec_lo
	s_waitcnt lgkmcnt(0)
	v_cndmask_b32_e64 v5, 0, 1, vcc_lo
	s_delay_alu instid0(VALU_DEP_1) | instskip(NEXT) | instid1(VALU_DEP_1)
	v_lshlrev_b32_e32 v5, 1, v5
	v_add_lshl_u32 v5, v5, v3, 2
	ds_bpermute_b32 v6, v5, v1
	ds_bpermute_b32 v5, v5, v2
	v_cmpx_gt_u32_e64 s13, v7
	s_cbranch_execz .LBB7_37
; %bb.36:
	s_waitcnt lgkmcnt(1)
	v_dual_max_f32 v6, v6, v6 :: v_dual_max_f32 v1, v1, v1
	s_waitcnt lgkmcnt(0)
	v_dual_max_f32 v5, v5, v5 :: v_dual_max_f32 v2, v2, v2
	s_delay_alu instid0(VALU_DEP_1)
	v_dual_min_f32 v1, v1, v6 :: v_dual_max_f32 v2, v2, v5
.LBB7_37:
	s_or_b32 exec_lo, exec_lo, s18
	v_cmp_gt_u32_e32 vcc_lo, 4, v4
	v_add_nc_u32_e32 v4, 4, v4
	s_waitcnt lgkmcnt(0)
	v_cndmask_b32_e64 v5, 0, 1, vcc_lo
	s_delay_alu instid0(VALU_DEP_2) | instskip(NEXT) | instid1(VALU_DEP_2)
	v_cmp_gt_u32_e32 vcc_lo, s13, v4
	v_lshlrev_b32_e32 v5, 2, v5
	s_delay_alu instid0(VALU_DEP_1)
	v_add_lshl_u32 v3, v5, v3, 2
	ds_bpermute_b32 v5, v3, v1
	ds_bpermute_b32 v3, v3, v2
	s_and_saveexec_b32 s13, vcc_lo
	s_cbranch_execz .LBB7_39
; %bb.38:
	s_waitcnt lgkmcnt(0)
	v_dual_max_f32 v4, v5, v5 :: v_dual_max_f32 v3, v3, v3
	v_dual_max_f32 v1, v1, v1 :: v_dual_max_f32 v2, v2, v2
	s_delay_alu instid0(VALU_DEP_1)
	v_dual_min_f32 v1, v1, v4 :: v_dual_max_f32 v2, v2, v3
.LBB7_39:
	s_or_b32 exec_lo, exec_lo, s13
.LBB7_40:
	s_delay_alu instid0(SALU_CYCLE_1) | instskip(NEXT) | instid1(SALU_CYCLE_1)
	s_or_b32 exec_lo, exec_lo, s12
	s_mov_b32 s12, exec_lo
	v_cmpx_eq_u32_e32 0, v0
	s_cbranch_execz .LBB7_42
; %bb.41:
	v_sub_f32_e32 v2, v2, v1
	s_load_b128 s[20:23], s[0:1], 0x10
	s_lshl_b64 s[0:1], s[10:11], 2
	s_waitcnt lgkmcnt(0)
	s_delay_alu instid0(VALU_DEP_1) | instskip(SKIP_1) | instid1(VALU_DEP_2)
	v_div_scale_f32 v3, null, 0x437f0000, 0x437f0000, v2
	v_div_scale_f32 v6, vcc_lo, v2, 0x437f0000, v2
	v_rcp_f32_e32 v4, v3
	s_waitcnt_depctr 0xfff
	v_fma_f32 v5, -v3, v4, 1.0
	s_add_u32 s10, s20, s0
	s_addc_u32 s11, s21, s1
	s_add_u32 s0, s22, s0
	s_addc_u32 s1, s23, s1
	v_fmac_f32_e32 v4, v5, v4
	s_delay_alu instid0(VALU_DEP_1) | instskip(NEXT) | instid1(VALU_DEP_1)
	v_mul_f32_e32 v5, v6, v4
	v_fma_f32 v7, -v3, v5, v6
	s_delay_alu instid0(VALU_DEP_1) | instskip(NEXT) | instid1(VALU_DEP_1)
	v_fmac_f32_e32 v5, v7, v4
	v_fma_f32 v3, -v3, v5, v6
	s_delay_alu instid0(VALU_DEP_1) | instskip(NEXT) | instid1(VALU_DEP_1)
	v_div_fmas_f32 v3, v3, v4, v5
	v_div_fixup_f32 v2, v3, 0x437f0000, v2
	s_delay_alu instid0(VALU_DEP_1) | instskip(SKIP_1) | instid1(VALU_DEP_2)
	v_div_scale_f32 v3, null, v2, v2, v1
	v_div_scale_f32 v6, vcc_lo, v1, v2, v1
	v_rcp_f32_e32 v4, v3
	s_waitcnt_depctr 0xfff
	v_fma_f32 v5, -v3, v4, 1.0
	s_delay_alu instid0(VALU_DEP_1) | instskip(NEXT) | instid1(VALU_DEP_1)
	v_fmac_f32_e32 v4, v5, v4
	v_mul_f32_e32 v5, v6, v4
	s_delay_alu instid0(VALU_DEP_1) | instskip(NEXT) | instid1(VALU_DEP_1)
	v_fma_f32 v7, -v3, v5, v6
	v_fmac_f32_e32 v5, v7, v4
	s_delay_alu instid0(VALU_DEP_1) | instskip(NEXT) | instid1(VALU_DEP_1)
	v_fma_f32 v3, -v3, v5, v6
	v_div_fmas_f32 v3, v3, v4, v5
	s_delay_alu instid0(VALU_DEP_1) | instskip(SKIP_1) | instid1(VALU_DEP_2)
	v_div_fixup_f32 v1, v3, v2, v1
	v_mov_b32_e32 v3, 0
	v_sub_f32_e32 v1, 0xc3000000, v1
	s_delay_alu instid0(VALU_DEP_1) | instskip(NEXT) | instid1(VALU_DEP_1)
	v_rndne_f32_e32 v1, v1
	v_cvt_i32_f32_e32 v1, v1
	ds_store_b64 v3, v[1:2] offset:64
	s_clause 0x1
	global_store_b32 v3, v2, s[10:11]
	global_store_b32 v3, v1, s[0:1]
.LBB7_42:
	s_or_b32 exec_lo, exec_lo, s12
	v_mov_b32_e32 v1, 0
	s_waitcnt lgkmcnt(0)
	s_waitcnt_vscnt null, 0x0
	s_barrier
	buffer_gl0_inv
	s_mov_b32 s0, -1
	ds_load_b64 v[17:18], v1 offset:64
	s_waitcnt lgkmcnt(0)
	v_div_scale_f32 v1, null, v18, v18, 1.0
	v_div_scale_f32 v4, vcc_lo, 1.0, v18, 1.0
	s_delay_alu instid0(VALU_DEP_2) | instskip(SKIP_2) | instid1(VALU_DEP_1)
	v_rcp_f32_e32 v2, v1
	s_waitcnt_depctr 0xfff
	v_fma_f32 v3, -v1, v2, 1.0
	v_fmac_f32_e32 v2, v3, v2
	s_delay_alu instid0(VALU_DEP_1) | instskip(NEXT) | instid1(VALU_DEP_1)
	v_mul_f32_e32 v3, v4, v2
	v_fma_f32 v5, -v1, v3, v4
	s_delay_alu instid0(VALU_DEP_1) | instskip(NEXT) | instid1(VALU_DEP_1)
	v_fmac_f32_e32 v3, v5, v2
	v_fma_f32 v1, -v1, v3, v4
	s_delay_alu instid0(VALU_DEP_1) | instskip(SKIP_1) | instid1(VALU_DEP_1)
	v_div_fmas_f32 v1, v1, v2, v3
	s_and_b32 vcc_lo, exec_lo, s17
	v_div_fixup_f32 v22, v1, v18, 1.0
	s_cbranch_vccz .LBB7_125
; %bb.43:
	s_sub_i32 s0, 0, s16
	s_mov_b32 s11, 0
	s_bfe_u32 s0, s0, 0x40002
	s_mov_b32 s1, exec_lo
	s_min_i32 s10, s0, s15
	s_delay_alu instid0(SALU_CYCLE_1)
	v_cmpx_gt_i32_e64 s10, v0
	s_cbranch_execz .LBB7_50
; %bb.44:
	v_dual_mov_b32 v1, 0 :: v_dual_lshlrev_b32 v2, 2, v0
	s_add_u32 s12, s2, s8
	s_addc_u32 s13, s3, s9
	s_add_u32 s0, s4, s6
	s_addc_u32 s16, s5, s7
	v_add_co_u32 v2, s0, s0, v2
	s_delay_alu instid0(VALU_DEP_1)
	v_add_co_ci_u32_e64 v3, null, s16, 0, s0
	v_dual_mov_b32 v5, v1 :: v_dual_mov_b32 v4, v0
	s_lshl_b32 s16, s14, 2
	s_movk_i32 s17, 0xff80
	s_set_inst_prefetch_distance 0x1
	s_branch .LBB7_47
	.p2align	6
.LBB7_45:                               ;   in Loop: Header=BB7_47 Depth=1
	s_or_b32 exec_lo, exec_lo, s18
.LBB7_46:                               ;   in Loop: Header=BB7_47 Depth=1
	s_delay_alu instid0(SALU_CYCLE_1)
	s_or_b32 exec_lo, exec_lo, s0
	v_add_co_u32 v6, vcc_lo, s12, v4
	v_add_co_u32 v4, s0, v4, s14
	v_add_nc_u32_e32 v1, v1, v17
	v_add_co_ci_u32_e32 v7, vcc_lo, s13, v5, vcc_lo
	v_add_co_ci_u32_e64 v5, vcc_lo, 0, v5, s0
	s_delay_alu instid0(VALU_DEP_4)
	v_cmp_le_i32_e32 vcc_lo, s10, v4
	v_add_co_u32 v2, s0, v2, s16
	v_med3_i32 v1, v1, s17, 0x7f
	v_add_co_ci_u32_e64 v3, s0, 0, v3, s0
	s_or_b32 s11, vcc_lo, s11
	global_store_b8 v[6:7], v1, off
	s_and_not1_b32 exec_lo, exec_lo, s11
	s_cbranch_execz .LBB7_50
.LBB7_47:                               ; =>This Inner Loop Header: Depth=1
	global_load_b32 v1, v[2:3], off
	s_mov_b32 s0, exec_lo
	s_waitcnt vmcnt(0)
	v_mul_f32_e32 v1, v22, v1
	s_delay_alu instid0(VALU_DEP_1) | instskip(SKIP_1) | instid1(VALU_DEP_2)
	v_rndne_f32_e32 v6, v1
	v_bfrev_b32_e32 v1, -2
	v_cmpx_nle_f32_e32 0x4f000000, v6
	s_cbranch_execz .LBB7_46
; %bb.48:                               ;   in Loop: Header=BB7_47 Depth=1
	v_bfrev_b32_e32 v1, 1
	s_mov_b32 s18, exec_lo
	v_cmpx_nge_f32_e32 0xcf000000, v6
	s_cbranch_execz .LBB7_45
; %bb.49:                               ;   in Loop: Header=BB7_47 Depth=1
	v_cvt_i32_f32_e32 v1, v6
	s_branch .LBB7_45
.LBB7_50:
	s_set_inst_prefetch_distance 0x2
	s_or_b32 exec_lo, exec_lo, s1
	s_sub_i32 s1, s15, s10
	s_ashr_i32 s11, s10, 31
	s_ashr_i32 s0, s1, 31
	s_mov_b32 s13, exec_lo
	s_lshr_b32 s0, s0, 28
	s_delay_alu instid0(SALU_CYCLE_1) | instskip(NEXT) | instid1(SALU_CYCLE_1)
	s_add_i32 s0, s1, s0
	s_ashr_i32 s12, s0, 4
	s_delay_alu instid0(SALU_CYCLE_1)
	v_cmpx_gt_i32_e64 s12, v0
	s_cbranch_execz .LBB7_117
; %bb.51:
	v_lshlrev_b32_e32 v1, 4, v0
	s_add_u32 s0, s10, s8
	s_addc_u32 s16, s11, s9
	s_add_u32 s0, s2, s0
	s_addc_u32 s16, s3, s16
	v_add_co_u32 v18, s0, s0, v1
	s_lshl_b64 s[18:19], s[10:11], 2
	v_add_co_ci_u32_e64 v19, null, s16, 0, s0
	s_lshl_b32 s16, s14, 4
	v_lshlrev_b32_e32 v1, 6, v0
	s_add_u32 s0, s4, s18
	s_addc_u32 s17, s5, s19
	s_add_u32 s0, s0, s6
	s_addc_u32 s17, s17, s7
	v_add_co_u32 v20, s0, s0, v1
	s_delay_alu instid0(VALU_DEP_1)
	v_add_co_ci_u32_e64 v21, null, s17, 0, s0
	v_mov_b32_e32 v23, v0
	s_mov_b32 s17, 0
	s_lshl_b32 s18, s14, 6
	s_movk_i32 s19, 0xff80
	s_branch .LBB7_54
.LBB7_52:                               ;   in Loop: Header=BB7_54 Depth=1
	s_or_b32 exec_lo, exec_lo, s20
.LBB7_53:                               ;   in Loop: Header=BB7_54 Depth=1
	s_delay_alu instid0(SALU_CYCLE_1)
	s_or_b32 exec_lo, exec_lo, s0
	v_add_nc_u32_e32 v3, v3, v17
	v_add_nc_u32_e32 v4, v8, v17
	;; [unrolled: 1-line block ×6, first 2 shown]
	v_med3_i32 v3, v3, s19, 0x7f
	v_med3_i32 v4, v4, s19, 0x7f
	;; [unrolled: 1-line block ×6, first 2 shown]
	v_add_nc_u32_e32 v7, v7, v17
	v_add_nc_u32_e32 v6, v6, v17
	;; [unrolled: 1-line block ×8, first 2 shown]
	v_lshlrev_b16 v4, 8, v4
	v_and_b32_e32 v1, 0xff, v1
	v_lshlrev_b16 v2, 8, v2
	v_and_b32_e32 v3, 0xff, v3
	;; [unrolled: 2-line block ×3, first 2 shown]
	v_add_nc_u32_e32 v13, v13, v17
	v_add_nc_u32_e32 v16, v24, v17
	v_med3_i32 v7, v7, s19, 0x7f
	v_med3_i32 v6, v6, s19, 0x7f
	;; [unrolled: 1-line block ×8, first 2 shown]
	v_or_b32_e32 v1, v1, v4
	v_or_b32_e32 v2, v3, v2
	;; [unrolled: 1-line block ×3, first 2 shown]
	v_med3_i32 v4, v13, s19, 0x7f
	v_med3_i32 v5, v16, s19, 0x7f
	v_lshlrev_b16 v7, 8, v7
	v_and_b32_e32 v6, 0xff, v6
	v_lshlrev_b16 v8, 8, v12
	v_and_b32_e32 v9, 0xff, v9
	;; [unrolled: 2-line block ×5, first 2 shown]
	v_or_b32_e32 v6, v6, v7
	v_or_b32_e32 v7, v9, v8
	;; [unrolled: 1-line block ×5, first 2 shown]
	v_and_b32_e32 v1, 0xffff, v1
	v_lshlrev_b32_e32 v2, 16, v2
	v_and_b32_e32 v3, 0xffff, v3
	v_lshlrev_b32_e32 v6, 16, v6
	;; [unrolled: 2-line block ×4, first 2 shown]
	v_or_b32_e32 v4, v1, v2
	v_or_b32_e32 v3, v3, v6
	;; [unrolled: 1-line block ×3, first 2 shown]
	v_add_nc_u32_e32 v23, s14, v23
	v_or_b32_e32 v1, v9, v5
	v_add_co_u32 v20, s0, v20, s18
	s_delay_alu instid0(VALU_DEP_1)
	v_add_co_ci_u32_e64 v21, s0, 0, v21, s0
	global_store_b128 v[18:19], v[1:4], off
	v_add_co_u32 v18, vcc_lo, v18, s16
	v_add_co_ci_u32_e32 v19, vcc_lo, 0, v19, vcc_lo
	v_cmp_le_i32_e32 vcc_lo, s12, v23
	s_or_b32 s17, vcc_lo, s17
	s_delay_alu instid0(SALU_CYCLE_1)
	s_and_not1_b32 exec_lo, exec_lo, s17
	s_cbranch_execz .LBB7_117
.LBB7_54:                               ; =>This Inner Loop Header: Depth=1
	s_clause 0x3
	global_load_b128 v[13:16], v[20:21], off
	global_load_b128 v[9:12], v[20:21], off offset:16
	global_load_b128 v[1:4], v[20:21], off offset:48
	;; [unrolled: 1-line block ×3, first 2 shown]
	v_bfrev_b32_e32 v24, -2
	s_mov_b32 s0, exec_lo
	s_waitcnt vmcnt(3)
	v_mul_f32_e32 v13, v22, v13
	s_delay_alu instid0(VALU_DEP_1) | instskip(SKIP_1) | instid1(VALU_DEP_2)
	v_rndne_f32_e32 v25, v13
	v_bfrev_b32_e32 v13, -2
	v_cmpx_nle_f32_e32 0x4f000000, v25
	s_cbranch_execz .LBB7_58
; %bb.55:                               ;   in Loop: Header=BB7_54 Depth=1
	v_bfrev_b32_e32 v24, 1
	s_mov_b32 s20, exec_lo
	v_cmpx_nge_f32_e32 0xcf000000, v25
; %bb.56:                               ;   in Loop: Header=BB7_54 Depth=1
	v_cvt_i32_f32_e32 v24, v25
; %bb.57:                               ;   in Loop: Header=BB7_54 Depth=1
	s_or_b32 exec_lo, exec_lo, s20
.LBB7_58:                               ;   in Loop: Header=BB7_54 Depth=1
	s_delay_alu instid0(SALU_CYCLE_1) | instskip(SKIP_2) | instid1(VALU_DEP_1)
	s_or_b32 exec_lo, exec_lo, s0
	v_mul_f32_e32 v14, v22, v14
	s_mov_b32 s0, exec_lo
	v_rndne_f32_e32 v14, v14
	s_delay_alu instid0(VALU_DEP_1)
	v_cmpx_nle_f32_e32 0x4f000000, v14
	s_cbranch_execz .LBB7_62
; %bb.59:                               ;   in Loop: Header=BB7_54 Depth=1
	v_bfrev_b32_e32 v13, 1
	s_mov_b32 s20, exec_lo
	v_cmpx_nge_f32_e32 0xcf000000, v14
; %bb.60:                               ;   in Loop: Header=BB7_54 Depth=1
	v_cvt_i32_f32_e32 v13, v14
; %bb.61:                               ;   in Loop: Header=BB7_54 Depth=1
	s_or_b32 exec_lo, exec_lo, s20
.LBB7_62:                               ;   in Loop: Header=BB7_54 Depth=1
	s_delay_alu instid0(SALU_CYCLE_1) | instskip(SKIP_3) | instid1(VALU_DEP_2)
	s_or_b32 exec_lo, exec_lo, s0
	v_mul_f32_e32 v14, v22, v15
	v_bfrev_b32_e32 v15, -2
	s_mov_b32 s0, exec_lo
	v_rndne_f32_e32 v25, v14
	v_bfrev_b32_e32 v14, -2
	s_delay_alu instid0(VALU_DEP_2)
	v_cmpx_nle_f32_e32 0x4f000000, v25
	s_cbranch_execz .LBB7_66
; %bb.63:                               ;   in Loop: Header=BB7_54 Depth=1
	v_bfrev_b32_e32 v15, 1
	s_mov_b32 s20, exec_lo
	v_cmpx_nge_f32_e32 0xcf000000, v25
; %bb.64:                               ;   in Loop: Header=BB7_54 Depth=1
	v_cvt_i32_f32_e32 v15, v25
; %bb.65:                               ;   in Loop: Header=BB7_54 Depth=1
	s_or_b32 exec_lo, exec_lo, s20
.LBB7_66:                               ;   in Loop: Header=BB7_54 Depth=1
	s_delay_alu instid0(SALU_CYCLE_1) | instskip(SKIP_2) | instid1(VALU_DEP_1)
	s_or_b32 exec_lo, exec_lo, s0
	v_mul_f32_e32 v16, v22, v16
	s_mov_b32 s0, exec_lo
	v_rndne_f32_e32 v16, v16
	s_delay_alu instid0(VALU_DEP_1)
	v_cmpx_nle_f32_e32 0x4f000000, v16
	s_cbranch_execz .LBB7_70
; %bb.67:                               ;   in Loop: Header=BB7_54 Depth=1
	v_bfrev_b32_e32 v14, 1
	s_mov_b32 s20, exec_lo
	v_cmpx_nge_f32_e32 0xcf000000, v16
; %bb.68:                               ;   in Loop: Header=BB7_54 Depth=1
	v_cvt_i32_f32_e32 v14, v16
; %bb.69:                               ;   in Loop: Header=BB7_54 Depth=1
	s_or_b32 exec_lo, exec_lo, s20
.LBB7_70:                               ;   in Loop: Header=BB7_54 Depth=1
	s_delay_alu instid0(SALU_CYCLE_1) | instskip(SKIP_4) | instid1(VALU_DEP_2)
	s_or_b32 exec_lo, exec_lo, s0
	s_waitcnt vmcnt(2)
	v_mul_f32_e32 v9, v22, v9
	v_bfrev_b32_e32 v16, -2
	s_mov_b32 s0, exec_lo
	v_rndne_f32_e32 v25, v9
	v_bfrev_b32_e32 v9, -2
	s_delay_alu instid0(VALU_DEP_2)
	v_cmpx_nle_f32_e32 0x4f000000, v25
	s_cbranch_execz .LBB7_74
; %bb.71:                               ;   in Loop: Header=BB7_54 Depth=1
	v_bfrev_b32_e32 v9, 1
	s_mov_b32 s20, exec_lo
	v_cmpx_nge_f32_e32 0xcf000000, v25
; %bb.72:                               ;   in Loop: Header=BB7_54 Depth=1
	v_cvt_i32_f32_e32 v9, v25
; %bb.73:                               ;   in Loop: Header=BB7_54 Depth=1
	s_or_b32 exec_lo, exec_lo, s20
.LBB7_74:                               ;   in Loop: Header=BB7_54 Depth=1
	s_delay_alu instid0(SALU_CYCLE_1) | instskip(SKIP_2) | instid1(VALU_DEP_1)
	s_or_b32 exec_lo, exec_lo, s0
	v_mul_f32_e32 v10, v22, v10
	s_mov_b32 s0, exec_lo
	v_rndne_f32_e32 v10, v10
	s_delay_alu instid0(VALU_DEP_1)
	v_cmpx_nle_f32_e32 0x4f000000, v10
	s_cbranch_execz .LBB7_78
; %bb.75:                               ;   in Loop: Header=BB7_54 Depth=1
	v_bfrev_b32_e32 v16, 1
	s_mov_b32 s20, exec_lo
	v_cmpx_nge_f32_e32 0xcf000000, v10
; %bb.76:                               ;   in Loop: Header=BB7_54 Depth=1
	v_cvt_i32_f32_e32 v16, v10
; %bb.77:                               ;   in Loop: Header=BB7_54 Depth=1
	s_or_b32 exec_lo, exec_lo, s20
.LBB7_78:                               ;   in Loop: Header=BB7_54 Depth=1
	s_delay_alu instid0(SALU_CYCLE_1) | instskip(SKIP_3) | instid1(VALU_DEP_2)
	s_or_b32 exec_lo, exec_lo, s0
	v_mul_f32_e32 v10, v22, v11
	v_bfrev_b32_e32 v11, -2
	s_mov_b32 s0, exec_lo
	v_rndne_f32_e32 v25, v10
	v_bfrev_b32_e32 v10, -2
	s_delay_alu instid0(VALU_DEP_2)
	v_cmpx_nle_f32_e32 0x4f000000, v25
	s_cbranch_execz .LBB7_82
; %bb.79:                               ;   in Loop: Header=BB7_54 Depth=1
	v_bfrev_b32_e32 v10, 1
	s_mov_b32 s20, exec_lo
	v_cmpx_nge_f32_e32 0xcf000000, v25
; %bb.80:                               ;   in Loop: Header=BB7_54 Depth=1
	v_cvt_i32_f32_e32 v10, v25
; %bb.81:                               ;   in Loop: Header=BB7_54 Depth=1
	s_or_b32 exec_lo, exec_lo, s20
.LBB7_82:                               ;   in Loop: Header=BB7_54 Depth=1
	s_delay_alu instid0(SALU_CYCLE_1) | instskip(SKIP_2) | instid1(VALU_DEP_1)
	s_or_b32 exec_lo, exec_lo, s0
	v_mul_f32_e32 v12, v22, v12
	s_mov_b32 s0, exec_lo
	v_rndne_f32_e32 v12, v12
	s_delay_alu instid0(VALU_DEP_1)
	v_cmpx_nle_f32_e32 0x4f000000, v12
	s_cbranch_execz .LBB7_86
; %bb.83:                               ;   in Loop: Header=BB7_54 Depth=1
	v_bfrev_b32_e32 v11, 1
	s_mov_b32 s20, exec_lo
	v_cmpx_nge_f32_e32 0xcf000000, v12
; %bb.84:                               ;   in Loop: Header=BB7_54 Depth=1
	v_cvt_i32_f32_e32 v11, v12
; %bb.85:                               ;   in Loop: Header=BB7_54 Depth=1
	s_or_b32 exec_lo, exec_lo, s20
.LBB7_86:                               ;   in Loop: Header=BB7_54 Depth=1
	s_delay_alu instid0(SALU_CYCLE_1) | instskip(SKIP_4) | instid1(VALU_DEP_2)
	s_or_b32 exec_lo, exec_lo, s0
	s_waitcnt vmcnt(0)
	v_mul_f32_e32 v5, v22, v5
	v_bfrev_b32_e32 v12, -2
	s_mov_b32 s0, exec_lo
	v_rndne_f32_e32 v25, v5
	v_bfrev_b32_e32 v5, -2
	s_delay_alu instid0(VALU_DEP_2)
	v_cmpx_nle_f32_e32 0x4f000000, v25
	s_cbranch_execz .LBB7_90
; %bb.87:                               ;   in Loop: Header=BB7_54 Depth=1
	v_bfrev_b32_e32 v5, 1
	s_mov_b32 s20, exec_lo
	v_cmpx_nge_f32_e32 0xcf000000, v25
; %bb.88:                               ;   in Loop: Header=BB7_54 Depth=1
	v_cvt_i32_f32_e32 v5, v25
; %bb.89:                               ;   in Loop: Header=BB7_54 Depth=1
	s_or_b32 exec_lo, exec_lo, s20
.LBB7_90:                               ;   in Loop: Header=BB7_54 Depth=1
	s_delay_alu instid0(SALU_CYCLE_1) | instskip(SKIP_2) | instid1(VALU_DEP_1)
	s_or_b32 exec_lo, exec_lo, s0
	v_mul_f32_e32 v6, v22, v6
	s_mov_b32 s0, exec_lo
	v_rndne_f32_e32 v6, v6
	s_delay_alu instid0(VALU_DEP_1)
	v_cmpx_nle_f32_e32 0x4f000000, v6
	s_cbranch_execz .LBB7_94
; %bb.91:                               ;   in Loop: Header=BB7_54 Depth=1
	v_bfrev_b32_e32 v12, 1
	s_mov_b32 s20, exec_lo
	v_cmpx_nge_f32_e32 0xcf000000, v6
; %bb.92:                               ;   in Loop: Header=BB7_54 Depth=1
	v_cvt_i32_f32_e32 v12, v6
; %bb.93:                               ;   in Loop: Header=BB7_54 Depth=1
	s_or_b32 exec_lo, exec_lo, s20
.LBB7_94:                               ;   in Loop: Header=BB7_54 Depth=1
	s_delay_alu instid0(SALU_CYCLE_1) | instskip(SKIP_3) | instid1(VALU_DEP_2)
	s_or_b32 exec_lo, exec_lo, s0
	v_mul_f32_e32 v6, v22, v7
	v_bfrev_b32_e32 v7, -2
	s_mov_b32 s0, exec_lo
	v_rndne_f32_e32 v25, v6
	v_bfrev_b32_e32 v6, -2
	s_delay_alu instid0(VALU_DEP_2)
	v_cmpx_nle_f32_e32 0x4f000000, v25
	s_cbranch_execz .LBB7_98
; %bb.95:                               ;   in Loop: Header=BB7_54 Depth=1
	v_bfrev_b32_e32 v6, 1
	s_mov_b32 s20, exec_lo
	v_cmpx_nge_f32_e32 0xcf000000, v25
; %bb.96:                               ;   in Loop: Header=BB7_54 Depth=1
	v_cvt_i32_f32_e32 v6, v25
; %bb.97:                               ;   in Loop: Header=BB7_54 Depth=1
	s_or_b32 exec_lo, exec_lo, s20
.LBB7_98:                               ;   in Loop: Header=BB7_54 Depth=1
	s_delay_alu instid0(SALU_CYCLE_1) | instskip(SKIP_2) | instid1(VALU_DEP_1)
	s_or_b32 exec_lo, exec_lo, s0
	v_mul_f32_e32 v8, v22, v8
	s_mov_b32 s0, exec_lo
	v_rndne_f32_e32 v8, v8
	s_delay_alu instid0(VALU_DEP_1)
	v_cmpx_nle_f32_e32 0x4f000000, v8
	s_cbranch_execz .LBB7_102
; %bb.99:                               ;   in Loop: Header=BB7_54 Depth=1
	v_bfrev_b32_e32 v7, 1
	s_mov_b32 s20, exec_lo
	v_cmpx_nge_f32_e32 0xcf000000, v8
; %bb.100:                              ;   in Loop: Header=BB7_54 Depth=1
	v_cvt_i32_f32_e32 v7, v8
; %bb.101:                              ;   in Loop: Header=BB7_54 Depth=1
	s_or_b32 exec_lo, exec_lo, s20
.LBB7_102:                              ;   in Loop: Header=BB7_54 Depth=1
	s_delay_alu instid0(SALU_CYCLE_1) | instskip(SKIP_3) | instid1(VALU_DEP_2)
	s_or_b32 exec_lo, exec_lo, s0
	v_mul_f32_e32 v1, v22, v1
	v_bfrev_b32_e32 v8, -2
	s_mov_b32 s0, exec_lo
	v_rndne_f32_e32 v25, v1
	v_bfrev_b32_e32 v1, -2
	s_delay_alu instid0(VALU_DEP_2)
	v_cmpx_nle_f32_e32 0x4f000000, v25
	s_cbranch_execz .LBB7_106
; %bb.103:                              ;   in Loop: Header=BB7_54 Depth=1
	v_bfrev_b32_e32 v1, 1
	s_mov_b32 s20, exec_lo
	v_cmpx_nge_f32_e32 0xcf000000, v25
; %bb.104:                              ;   in Loop: Header=BB7_54 Depth=1
	v_cvt_i32_f32_e32 v1, v25
; %bb.105:                              ;   in Loop: Header=BB7_54 Depth=1
	s_or_b32 exec_lo, exec_lo, s20
.LBB7_106:                              ;   in Loop: Header=BB7_54 Depth=1
	s_delay_alu instid0(SALU_CYCLE_1) | instskip(SKIP_2) | instid1(VALU_DEP_1)
	s_or_b32 exec_lo, exec_lo, s0
	v_mul_f32_e32 v2, v22, v2
	s_mov_b32 s0, exec_lo
	v_rndne_f32_e32 v2, v2
	s_delay_alu instid0(VALU_DEP_1)
	v_cmpx_nle_f32_e32 0x4f000000, v2
	s_cbranch_execz .LBB7_110
; %bb.107:                              ;   in Loop: Header=BB7_54 Depth=1
	v_bfrev_b32_e32 v8, 1
	s_mov_b32 s20, exec_lo
	v_cmpx_nge_f32_e32 0xcf000000, v2
; %bb.108:                              ;   in Loop: Header=BB7_54 Depth=1
	v_cvt_i32_f32_e32 v8, v2
; %bb.109:                              ;   in Loop: Header=BB7_54 Depth=1
	s_or_b32 exec_lo, exec_lo, s20
.LBB7_110:                              ;   in Loop: Header=BB7_54 Depth=1
	s_delay_alu instid0(SALU_CYCLE_1) | instskip(SKIP_3) | instid1(VALU_DEP_2)
	s_or_b32 exec_lo, exec_lo, s0
	v_mul_f32_e32 v2, v22, v3
	v_bfrev_b32_e32 v3, -2
	s_mov_b32 s0, exec_lo
	v_rndne_f32_e32 v25, v2
	v_bfrev_b32_e32 v2, -2
	s_delay_alu instid0(VALU_DEP_2)
	v_cmpx_nle_f32_e32 0x4f000000, v25
	s_cbranch_execz .LBB7_114
; %bb.111:                              ;   in Loop: Header=BB7_54 Depth=1
	v_bfrev_b32_e32 v3, 1
	s_mov_b32 s20, exec_lo
	v_cmpx_nge_f32_e32 0xcf000000, v25
; %bb.112:                              ;   in Loop: Header=BB7_54 Depth=1
	v_cvt_i32_f32_e32 v3, v25
; %bb.113:                              ;   in Loop: Header=BB7_54 Depth=1
	s_or_b32 exec_lo, exec_lo, s20
.LBB7_114:                              ;   in Loop: Header=BB7_54 Depth=1
	s_delay_alu instid0(SALU_CYCLE_1) | instskip(SKIP_2) | instid1(VALU_DEP_1)
	s_or_b32 exec_lo, exec_lo, s0
	v_mul_f32_e32 v4, v22, v4
	s_mov_b32 s0, exec_lo
	v_rndne_f32_e32 v4, v4
	s_delay_alu instid0(VALU_DEP_1)
	v_cmpx_nle_f32_e32 0x4f000000, v4
	s_cbranch_execz .LBB7_53
; %bb.115:                              ;   in Loop: Header=BB7_54 Depth=1
	v_bfrev_b32_e32 v2, 1
	s_mov_b32 s20, exec_lo
	v_cmpx_nge_f32_e32 0xcf000000, v4
	s_cbranch_execz .LBB7_52
; %bb.116:                              ;   in Loop: Header=BB7_54 Depth=1
	v_cvt_i32_f32_e32 v2, v4
	s_branch .LBB7_52
.LBB7_117:
	s_or_b32 exec_lo, exec_lo, s13
	v_lshl_add_u32 v1, s12, 4, v0
	s_mov_b32 s12, exec_lo
	s_delay_alu instid0(VALU_DEP_1)
	v_cmpx_gt_i32_e64 s1, v1
	s_cbranch_execz .LBB7_124
; %bb.118:
	v_ashrrev_i32_e32 v2, 31, v1
	s_lshl_b64 s[16:17], s[10:11], 2
	s_delay_alu instid0(SALU_CYCLE_1) | instskip(SKIP_1) | instid1(VALU_DEP_1)
	s_add_u32 s0, s6, s16
	s_addc_u32 s13, s7, s17
	v_lshlrev_b64 v[3:4], 2, v[1:2]
	s_add_u32 s0, s4, s0
	s_addc_u32 s16, s5, s13
	s_lshl_b32 s13, s14, 2
	s_movk_i32 s17, 0xff80
	s_delay_alu instid0(VALU_DEP_1)
	v_add_co_u32 v3, vcc_lo, s0, v3
	s_add_u32 s0, s10, s8
	s_addc_u32 s10, s11, s9
	s_add_u32 s0, s2, s0
	v_add_co_ci_u32_e32 v4, vcc_lo, s16, v4, vcc_lo
	s_addc_u32 s10, s3, s10
	v_add_co_u32 v5, vcc_lo, s0, v1
	v_add_co_ci_u32_e32 v2, vcc_lo, s10, v2, vcc_lo
	s_mov_b32 s16, 0
	s_mov_b64 s[10:11], 0
	s_set_inst_prefetch_distance 0x1
	s_branch .LBB7_121
	.p2align	6
.LBB7_119:                              ;   in Loop: Header=BB7_121 Depth=1
	s_or_b32 exec_lo, exec_lo, s18
.LBB7_120:                              ;   in Loop: Header=BB7_121 Depth=1
	s_delay_alu instid0(SALU_CYCLE_1)
	s_or_b32 exec_lo, exec_lo, s0
	v_add_co_u32 v7, vcc_lo, v5, s10
	s_add_u32 s10, s10, s14
	v_add_nc_u32_e32 v6, v6, v17
	v_add_nc_u32_e32 v9, s10, v1
	v_add_co_ci_u32_e32 v8, vcc_lo, s11, v2, vcc_lo
	v_add_co_u32 v3, s0, v3, s13
	s_delay_alu instid0(VALU_DEP_3)
	v_cmp_le_i32_e32 vcc_lo, s1, v9
	v_med3_i32 v6, v6, s17, 0x7f
	v_add_co_ci_u32_e64 v4, s0, 0, v4, s0
	s_addc_u32 s11, s11, 0
	s_or_b32 s16, vcc_lo, s16
	global_store_b8 v[7:8], v6, off
	s_and_not1_b32 exec_lo, exec_lo, s16
	s_cbranch_execz .LBB7_124
.LBB7_121:                              ; =>This Inner Loop Header: Depth=1
	global_load_b32 v6, v[3:4], off
	s_mov_b32 s0, exec_lo
	s_waitcnt vmcnt(0)
	v_mul_f32_e32 v6, v22, v6
	s_delay_alu instid0(VALU_DEP_1) | instskip(SKIP_1) | instid1(VALU_DEP_2)
	v_rndne_f32_e32 v7, v6
	v_bfrev_b32_e32 v6, -2
	v_cmpx_nle_f32_e32 0x4f000000, v7
	s_cbranch_execz .LBB7_120
; %bb.122:                              ;   in Loop: Header=BB7_121 Depth=1
	v_bfrev_b32_e32 v6, 1
	s_mov_b32 s18, exec_lo
	v_cmpx_nge_f32_e32 0xcf000000, v7
	s_cbranch_execz .LBB7_119
; %bb.123:                              ;   in Loop: Header=BB7_121 Depth=1
	v_cvt_i32_f32_e32 v6, v7
	s_branch .LBB7_119
.LBB7_124:
	s_set_inst_prefetch_distance 0x2
	s_or_b32 exec_lo, exec_lo, s12
	s_mov_b32 s0, 0
.LBB7_125:
	s_delay_alu instid0(SALU_CYCLE_1)
	s_and_b32 vcc_lo, exec_lo, s0
	s_cbranch_vccz .LBB7_193
; %bb.126:
	s_ashr_i32 s1, s15, 4
	s_mov_b32 s0, exec_lo
	v_cmpx_gt_i32_e64 s1, v0
	s_cbranch_execz .LBB7_193
; %bb.127:
	v_lshlrev_b32_e32 v1, 4, v0
	s_add_u32 s0, s2, s8
	s_addc_u32 s2, s3, s9
	s_delay_alu instid0(VALU_DEP_1)
	v_add_co_u32 v18, s0, s0, v1
	v_lshlrev_b32_e32 v1, 6, v0
	v_add_co_ci_u32_e64 v19, null, s2, 0, s0
	s_lshl_b32 s2, s14, 4
	s_add_u32 s0, s4, s6
	s_addc_u32 s3, s5, s7
	v_add_co_u32 v20, s0, s0, v1
	s_delay_alu instid0(VALU_DEP_1)
	v_add_co_ci_u32_e64 v21, null, s3, 0, s0
	s_mov_b32 s3, 0
	s_lshl_b32 s4, s14, 6
	s_movk_i32 s5, 0xff80
	s_branch .LBB7_130
.LBB7_128:                              ;   in Loop: Header=BB7_130 Depth=1
	s_or_b32 exec_lo, exec_lo, s6
.LBB7_129:                              ;   in Loop: Header=BB7_130 Depth=1
	s_delay_alu instid0(SALU_CYCLE_1)
	s_or_b32 exec_lo, exec_lo, s0
	v_add_nc_u32_e32 v3, v3, v17
	v_add_nc_u32_e32 v4, v8, v17
	;; [unrolled: 1-line block ×6, first 2 shown]
	v_med3_i32 v3, v3, s5, 0x7f
	v_med3_i32 v4, v4, s5, 0x7f
	;; [unrolled: 1-line block ×6, first 2 shown]
	v_add_nc_u32_e32 v7, v7, v17
	v_add_nc_u32_e32 v6, v6, v17
	v_add_nc_u32_e32 v11, v11, v17
	v_add_nc_u32_e32 v10, v10, v17
	v_add_nc_u32_e32 v12, v16, v17
	v_add_nc_u32_e32 v9, v9, v17
	v_add_nc_u32_e32 v14, v14, v17
	v_add_nc_u32_e32 v15, v15, v17
	v_lshlrev_b16 v4, 8, v4
	v_and_b32_e32 v1, 0xff, v1
	v_lshlrev_b16 v2, 8, v2
	v_and_b32_e32 v3, 0xff, v3
	;; [unrolled: 2-line block ×3, first 2 shown]
	v_add_nc_u32_e32 v13, v13, v17
	v_add_nc_u32_e32 v16, v23, v17
	v_med3_i32 v7, v7, s5, 0x7f
	v_med3_i32 v6, v6, s5, 0x7f
	;; [unrolled: 1-line block ×8, first 2 shown]
	v_or_b32_e32 v1, v1, v4
	v_or_b32_e32 v2, v3, v2
	;; [unrolled: 1-line block ×3, first 2 shown]
	v_med3_i32 v4, v13, s5, 0x7f
	v_med3_i32 v5, v16, s5, 0x7f
	v_lshlrev_b16 v7, 8, v7
	v_and_b32_e32 v6, 0xff, v6
	v_lshlrev_b16 v8, 8, v12
	v_and_b32_e32 v9, 0xff, v9
	;; [unrolled: 2-line block ×5, first 2 shown]
	v_or_b32_e32 v6, v6, v7
	v_or_b32_e32 v7, v9, v8
	;; [unrolled: 1-line block ×5, first 2 shown]
	v_and_b32_e32 v1, 0xffff, v1
	v_lshlrev_b32_e32 v2, 16, v2
	v_and_b32_e32 v3, 0xffff, v3
	v_lshlrev_b32_e32 v6, 16, v6
	;; [unrolled: 2-line block ×4, first 2 shown]
	v_or_b32_e32 v4, v1, v2
	v_or_b32_e32 v3, v3, v6
	;; [unrolled: 1-line block ×3, first 2 shown]
	v_add_nc_u32_e32 v0, s14, v0
	v_or_b32_e32 v1, v9, v5
	v_add_co_u32 v20, s0, v20, s4
	s_delay_alu instid0(VALU_DEP_1)
	v_add_co_ci_u32_e64 v21, s0, 0, v21, s0
	global_store_b128 v[18:19], v[1:4], off
	v_add_co_u32 v18, vcc_lo, v18, s2
	v_add_co_ci_u32_e32 v19, vcc_lo, 0, v19, vcc_lo
	v_cmp_le_i32_e32 vcc_lo, s1, v0
	s_or_b32 s3, vcc_lo, s3
	s_delay_alu instid0(SALU_CYCLE_1)
	s_and_not1_b32 exec_lo, exec_lo, s3
	s_cbranch_execz .LBB7_193
.LBB7_130:                              ; =>This Inner Loop Header: Depth=1
	s_clause 0x3
	global_load_b128 v[13:16], v[20:21], off
	global_load_b128 v[9:12], v[20:21], off offset:16
	global_load_b128 v[1:4], v[20:21], off offset:48
	;; [unrolled: 1-line block ×3, first 2 shown]
	v_bfrev_b32_e32 v23, -2
	s_mov_b32 s0, exec_lo
	s_waitcnt vmcnt(3)
	v_mul_f32_e32 v13, v22, v13
	s_delay_alu instid0(VALU_DEP_1) | instskip(SKIP_1) | instid1(VALU_DEP_2)
	v_rndne_f32_e32 v24, v13
	v_bfrev_b32_e32 v13, -2
	v_cmpx_nle_f32_e32 0x4f000000, v24
	s_cbranch_execz .LBB7_134
; %bb.131:                              ;   in Loop: Header=BB7_130 Depth=1
	v_bfrev_b32_e32 v23, 1
	s_mov_b32 s6, exec_lo
	v_cmpx_nge_f32_e32 0xcf000000, v24
; %bb.132:                              ;   in Loop: Header=BB7_130 Depth=1
	v_cvt_i32_f32_e32 v23, v24
; %bb.133:                              ;   in Loop: Header=BB7_130 Depth=1
	s_or_b32 exec_lo, exec_lo, s6
.LBB7_134:                              ;   in Loop: Header=BB7_130 Depth=1
	s_delay_alu instid0(SALU_CYCLE_1) | instskip(SKIP_2) | instid1(VALU_DEP_1)
	s_or_b32 exec_lo, exec_lo, s0
	v_mul_f32_e32 v14, v22, v14
	s_mov_b32 s0, exec_lo
	v_rndne_f32_e32 v14, v14
	s_delay_alu instid0(VALU_DEP_1)
	v_cmpx_nle_f32_e32 0x4f000000, v14
	s_cbranch_execz .LBB7_138
; %bb.135:                              ;   in Loop: Header=BB7_130 Depth=1
	v_bfrev_b32_e32 v13, 1
	s_mov_b32 s6, exec_lo
	v_cmpx_nge_f32_e32 0xcf000000, v14
; %bb.136:                              ;   in Loop: Header=BB7_130 Depth=1
	v_cvt_i32_f32_e32 v13, v14
; %bb.137:                              ;   in Loop: Header=BB7_130 Depth=1
	s_or_b32 exec_lo, exec_lo, s6
.LBB7_138:                              ;   in Loop: Header=BB7_130 Depth=1
	s_delay_alu instid0(SALU_CYCLE_1) | instskip(SKIP_3) | instid1(VALU_DEP_2)
	s_or_b32 exec_lo, exec_lo, s0
	v_mul_f32_e32 v14, v22, v15
	v_bfrev_b32_e32 v15, -2
	s_mov_b32 s0, exec_lo
	v_rndne_f32_e32 v24, v14
	v_bfrev_b32_e32 v14, -2
	s_delay_alu instid0(VALU_DEP_2)
	v_cmpx_nle_f32_e32 0x4f000000, v24
	s_cbranch_execz .LBB7_142
; %bb.139:                              ;   in Loop: Header=BB7_130 Depth=1
	v_bfrev_b32_e32 v15, 1
	s_mov_b32 s6, exec_lo
	v_cmpx_nge_f32_e32 0xcf000000, v24
; %bb.140:                              ;   in Loop: Header=BB7_130 Depth=1
	v_cvt_i32_f32_e32 v15, v24
; %bb.141:                              ;   in Loop: Header=BB7_130 Depth=1
	s_or_b32 exec_lo, exec_lo, s6
.LBB7_142:                              ;   in Loop: Header=BB7_130 Depth=1
	s_delay_alu instid0(SALU_CYCLE_1) | instskip(SKIP_2) | instid1(VALU_DEP_1)
	s_or_b32 exec_lo, exec_lo, s0
	v_mul_f32_e32 v16, v22, v16
	s_mov_b32 s0, exec_lo
	v_rndne_f32_e32 v16, v16
	s_delay_alu instid0(VALU_DEP_1)
	v_cmpx_nle_f32_e32 0x4f000000, v16
	s_cbranch_execz .LBB7_146
; %bb.143:                              ;   in Loop: Header=BB7_130 Depth=1
	v_bfrev_b32_e32 v14, 1
	s_mov_b32 s6, exec_lo
	v_cmpx_nge_f32_e32 0xcf000000, v16
; %bb.144:                              ;   in Loop: Header=BB7_130 Depth=1
	v_cvt_i32_f32_e32 v14, v16
; %bb.145:                              ;   in Loop: Header=BB7_130 Depth=1
	s_or_b32 exec_lo, exec_lo, s6
.LBB7_146:                              ;   in Loop: Header=BB7_130 Depth=1
	s_delay_alu instid0(SALU_CYCLE_1) | instskip(SKIP_4) | instid1(VALU_DEP_2)
	s_or_b32 exec_lo, exec_lo, s0
	s_waitcnt vmcnt(2)
	v_mul_f32_e32 v9, v22, v9
	v_bfrev_b32_e32 v16, -2
	s_mov_b32 s0, exec_lo
	v_rndne_f32_e32 v24, v9
	v_bfrev_b32_e32 v9, -2
	s_delay_alu instid0(VALU_DEP_2)
	v_cmpx_nle_f32_e32 0x4f000000, v24
	s_cbranch_execz .LBB7_150
; %bb.147:                              ;   in Loop: Header=BB7_130 Depth=1
	v_bfrev_b32_e32 v9, 1
	s_mov_b32 s6, exec_lo
	v_cmpx_nge_f32_e32 0xcf000000, v24
; %bb.148:                              ;   in Loop: Header=BB7_130 Depth=1
	v_cvt_i32_f32_e32 v9, v24
; %bb.149:                              ;   in Loop: Header=BB7_130 Depth=1
	s_or_b32 exec_lo, exec_lo, s6
.LBB7_150:                              ;   in Loop: Header=BB7_130 Depth=1
	s_delay_alu instid0(SALU_CYCLE_1) | instskip(SKIP_2) | instid1(VALU_DEP_1)
	s_or_b32 exec_lo, exec_lo, s0
	v_mul_f32_e32 v10, v22, v10
	s_mov_b32 s0, exec_lo
	v_rndne_f32_e32 v10, v10
	s_delay_alu instid0(VALU_DEP_1)
	v_cmpx_nle_f32_e32 0x4f000000, v10
	s_cbranch_execz .LBB7_154
; %bb.151:                              ;   in Loop: Header=BB7_130 Depth=1
	v_bfrev_b32_e32 v16, 1
	s_mov_b32 s6, exec_lo
	v_cmpx_nge_f32_e32 0xcf000000, v10
; %bb.152:                              ;   in Loop: Header=BB7_130 Depth=1
	v_cvt_i32_f32_e32 v16, v10
; %bb.153:                              ;   in Loop: Header=BB7_130 Depth=1
	s_or_b32 exec_lo, exec_lo, s6
.LBB7_154:                              ;   in Loop: Header=BB7_130 Depth=1
	s_delay_alu instid0(SALU_CYCLE_1) | instskip(SKIP_3) | instid1(VALU_DEP_2)
	s_or_b32 exec_lo, exec_lo, s0
	v_mul_f32_e32 v10, v22, v11
	v_bfrev_b32_e32 v11, -2
	s_mov_b32 s0, exec_lo
	v_rndne_f32_e32 v24, v10
	v_bfrev_b32_e32 v10, -2
	s_delay_alu instid0(VALU_DEP_2)
	v_cmpx_nle_f32_e32 0x4f000000, v24
	s_cbranch_execz .LBB7_158
; %bb.155:                              ;   in Loop: Header=BB7_130 Depth=1
	v_bfrev_b32_e32 v10, 1
	s_mov_b32 s6, exec_lo
	v_cmpx_nge_f32_e32 0xcf000000, v24
; %bb.156:                              ;   in Loop: Header=BB7_130 Depth=1
	v_cvt_i32_f32_e32 v10, v24
; %bb.157:                              ;   in Loop: Header=BB7_130 Depth=1
	s_or_b32 exec_lo, exec_lo, s6
.LBB7_158:                              ;   in Loop: Header=BB7_130 Depth=1
	s_delay_alu instid0(SALU_CYCLE_1) | instskip(SKIP_2) | instid1(VALU_DEP_1)
	s_or_b32 exec_lo, exec_lo, s0
	v_mul_f32_e32 v12, v22, v12
	s_mov_b32 s0, exec_lo
	v_rndne_f32_e32 v12, v12
	s_delay_alu instid0(VALU_DEP_1)
	v_cmpx_nle_f32_e32 0x4f000000, v12
	s_cbranch_execz .LBB7_162
; %bb.159:                              ;   in Loop: Header=BB7_130 Depth=1
	v_bfrev_b32_e32 v11, 1
	s_mov_b32 s6, exec_lo
	v_cmpx_nge_f32_e32 0xcf000000, v12
; %bb.160:                              ;   in Loop: Header=BB7_130 Depth=1
	v_cvt_i32_f32_e32 v11, v12
; %bb.161:                              ;   in Loop: Header=BB7_130 Depth=1
	s_or_b32 exec_lo, exec_lo, s6
.LBB7_162:                              ;   in Loop: Header=BB7_130 Depth=1
	s_delay_alu instid0(SALU_CYCLE_1) | instskip(SKIP_4) | instid1(VALU_DEP_2)
	s_or_b32 exec_lo, exec_lo, s0
	s_waitcnt vmcnt(0)
	v_mul_f32_e32 v5, v22, v5
	v_bfrev_b32_e32 v12, -2
	s_mov_b32 s0, exec_lo
	v_rndne_f32_e32 v24, v5
	v_bfrev_b32_e32 v5, -2
	s_delay_alu instid0(VALU_DEP_2)
	v_cmpx_nle_f32_e32 0x4f000000, v24
	s_cbranch_execz .LBB7_166
; %bb.163:                              ;   in Loop: Header=BB7_130 Depth=1
	v_bfrev_b32_e32 v5, 1
	s_mov_b32 s6, exec_lo
	v_cmpx_nge_f32_e32 0xcf000000, v24
; %bb.164:                              ;   in Loop: Header=BB7_130 Depth=1
	v_cvt_i32_f32_e32 v5, v24
; %bb.165:                              ;   in Loop: Header=BB7_130 Depth=1
	s_or_b32 exec_lo, exec_lo, s6
.LBB7_166:                              ;   in Loop: Header=BB7_130 Depth=1
	s_delay_alu instid0(SALU_CYCLE_1) | instskip(SKIP_2) | instid1(VALU_DEP_1)
	s_or_b32 exec_lo, exec_lo, s0
	v_mul_f32_e32 v6, v22, v6
	s_mov_b32 s0, exec_lo
	v_rndne_f32_e32 v6, v6
	s_delay_alu instid0(VALU_DEP_1)
	v_cmpx_nle_f32_e32 0x4f000000, v6
	s_cbranch_execz .LBB7_170
; %bb.167:                              ;   in Loop: Header=BB7_130 Depth=1
	v_bfrev_b32_e32 v12, 1
	s_mov_b32 s6, exec_lo
	v_cmpx_nge_f32_e32 0xcf000000, v6
; %bb.168:                              ;   in Loop: Header=BB7_130 Depth=1
	v_cvt_i32_f32_e32 v12, v6
; %bb.169:                              ;   in Loop: Header=BB7_130 Depth=1
	s_or_b32 exec_lo, exec_lo, s6
.LBB7_170:                              ;   in Loop: Header=BB7_130 Depth=1
	s_delay_alu instid0(SALU_CYCLE_1) | instskip(SKIP_3) | instid1(VALU_DEP_2)
	s_or_b32 exec_lo, exec_lo, s0
	v_mul_f32_e32 v6, v22, v7
	v_bfrev_b32_e32 v7, -2
	s_mov_b32 s0, exec_lo
	v_rndne_f32_e32 v24, v6
	v_bfrev_b32_e32 v6, -2
	s_delay_alu instid0(VALU_DEP_2)
	v_cmpx_nle_f32_e32 0x4f000000, v24
	s_cbranch_execz .LBB7_174
; %bb.171:                              ;   in Loop: Header=BB7_130 Depth=1
	v_bfrev_b32_e32 v6, 1
	s_mov_b32 s6, exec_lo
	v_cmpx_nge_f32_e32 0xcf000000, v24
; %bb.172:                              ;   in Loop: Header=BB7_130 Depth=1
	v_cvt_i32_f32_e32 v6, v24
; %bb.173:                              ;   in Loop: Header=BB7_130 Depth=1
	s_or_b32 exec_lo, exec_lo, s6
.LBB7_174:                              ;   in Loop: Header=BB7_130 Depth=1
	s_delay_alu instid0(SALU_CYCLE_1) | instskip(SKIP_2) | instid1(VALU_DEP_1)
	s_or_b32 exec_lo, exec_lo, s0
	v_mul_f32_e32 v8, v22, v8
	s_mov_b32 s0, exec_lo
	v_rndne_f32_e32 v8, v8
	s_delay_alu instid0(VALU_DEP_1)
	v_cmpx_nle_f32_e32 0x4f000000, v8
	s_cbranch_execz .LBB7_178
; %bb.175:                              ;   in Loop: Header=BB7_130 Depth=1
	v_bfrev_b32_e32 v7, 1
	s_mov_b32 s6, exec_lo
	v_cmpx_nge_f32_e32 0xcf000000, v8
; %bb.176:                              ;   in Loop: Header=BB7_130 Depth=1
	v_cvt_i32_f32_e32 v7, v8
; %bb.177:                              ;   in Loop: Header=BB7_130 Depth=1
	s_or_b32 exec_lo, exec_lo, s6
.LBB7_178:                              ;   in Loop: Header=BB7_130 Depth=1
	s_delay_alu instid0(SALU_CYCLE_1) | instskip(SKIP_3) | instid1(VALU_DEP_2)
	s_or_b32 exec_lo, exec_lo, s0
	;; [unrolled: 36-line block ×3, first 2 shown]
	v_mul_f32_e32 v2, v22, v3
	v_bfrev_b32_e32 v3, -2
	s_mov_b32 s0, exec_lo
	v_rndne_f32_e32 v24, v2
	v_bfrev_b32_e32 v2, -2
	s_delay_alu instid0(VALU_DEP_2)
	v_cmpx_nle_f32_e32 0x4f000000, v24
	s_cbranch_execz .LBB7_190
; %bb.187:                              ;   in Loop: Header=BB7_130 Depth=1
	v_bfrev_b32_e32 v3, 1
	s_mov_b32 s6, exec_lo
	v_cmpx_nge_f32_e32 0xcf000000, v24
; %bb.188:                              ;   in Loop: Header=BB7_130 Depth=1
	v_cvt_i32_f32_e32 v3, v24
; %bb.189:                              ;   in Loop: Header=BB7_130 Depth=1
	s_or_b32 exec_lo, exec_lo, s6
.LBB7_190:                              ;   in Loop: Header=BB7_130 Depth=1
	s_delay_alu instid0(SALU_CYCLE_1) | instskip(SKIP_2) | instid1(VALU_DEP_1)
	s_or_b32 exec_lo, exec_lo, s0
	v_mul_f32_e32 v4, v22, v4
	s_mov_b32 s0, exec_lo
	v_rndne_f32_e32 v4, v4
	s_delay_alu instid0(VALU_DEP_1)
	v_cmpx_nle_f32_e32 0x4f000000, v4
	s_cbranch_execz .LBB7_129
; %bb.191:                              ;   in Loop: Header=BB7_130 Depth=1
	v_bfrev_b32_e32 v2, 1
	s_mov_b32 s6, exec_lo
	v_cmpx_nge_f32_e32 0xcf000000, v4
	s_cbranch_execz .LBB7_128
; %bb.192:                              ;   in Loop: Header=BB7_130 Depth=1
	v_cvt_i32_f32_e32 v2, v4
	s_branch .LBB7_128
.LBB7_193:
	s_nop 0
	s_sendmsg sendmsg(MSG_DEALLOC_VGPRS)
	s_endpgm
	.section	.rodata,"a",@progbits
	.p2align	6, 0x0
	.amdhsa_kernel _ZN4vllm36dynamic_scaled_int8_azp_quant_kernelIffiEEvPKT_PaPT0_PT1_i
		.amdhsa_group_segment_fixed_size 72
		.amdhsa_private_segment_fixed_size 0
		.amdhsa_kernarg_size 296
		.amdhsa_user_sgpr_count 15
		.amdhsa_user_sgpr_dispatch_ptr 0
		.amdhsa_user_sgpr_queue_ptr 0
		.amdhsa_user_sgpr_kernarg_segment_ptr 1
		.amdhsa_user_sgpr_dispatch_id 0
		.amdhsa_user_sgpr_private_segment_size 0
		.amdhsa_wavefront_size32 1
		.amdhsa_uses_dynamic_stack 0
		.amdhsa_enable_private_segment 0
		.amdhsa_system_sgpr_workgroup_id_x 1
		.amdhsa_system_sgpr_workgroup_id_y 0
		.amdhsa_system_sgpr_workgroup_id_z 0
		.amdhsa_system_sgpr_workgroup_info 0
		.amdhsa_system_vgpr_workitem_id 0
		.amdhsa_next_free_vgpr 26
		.amdhsa_next_free_sgpr 24
		.amdhsa_reserve_vcc 1
		.amdhsa_float_round_mode_32 0
		.amdhsa_float_round_mode_16_64 0
		.amdhsa_float_denorm_mode_32 3
		.amdhsa_float_denorm_mode_16_64 3
		.amdhsa_dx10_clamp 1
		.amdhsa_ieee_mode 1
		.amdhsa_fp16_overflow 0
		.amdhsa_workgroup_processor_mode 1
		.amdhsa_memory_ordered 1
		.amdhsa_forward_progress 0
		.amdhsa_shared_vgpr_count 0
		.amdhsa_exception_fp_ieee_invalid_op 0
		.amdhsa_exception_fp_denorm_src 0
		.amdhsa_exception_fp_ieee_div_zero 0
		.amdhsa_exception_fp_ieee_overflow 0
		.amdhsa_exception_fp_ieee_underflow 0
		.amdhsa_exception_fp_ieee_inexact 0
		.amdhsa_exception_int_div_zero 0
	.end_amdhsa_kernel
	.section	.text._ZN4vllm36dynamic_scaled_int8_azp_quant_kernelIffiEEvPKT_PaPT0_PT1_i,"axG",@progbits,_ZN4vllm36dynamic_scaled_int8_azp_quant_kernelIffiEEvPKT_PaPT0_PT1_i,comdat
.Lfunc_end7:
	.size	_ZN4vllm36dynamic_scaled_int8_azp_quant_kernelIffiEEvPKT_PaPT0_PT1_i, .Lfunc_end7-_ZN4vllm36dynamic_scaled_int8_azp_quant_kernelIffiEEvPKT_PaPT0_PT1_i
                                        ; -- End function
	.section	.AMDGPU.csdata,"",@progbits
; Kernel info:
; codeLenInByte = 6776
; NumSgprs: 26
; NumVgprs: 26
; ScratchSize: 0
; MemoryBound: 1
; FloatMode: 240
; IeeeMode: 1
; LDSByteSize: 72 bytes/workgroup (compile time only)
; SGPRBlocks: 3
; VGPRBlocks: 3
; NumSGPRsForWavesPerEU: 26
; NumVGPRsForWavesPerEU: 26
; Occupancy: 16
; WaveLimiterHint : 0
; COMPUTE_PGM_RSRC2:SCRATCH_EN: 0
; COMPUTE_PGM_RSRC2:USER_SGPR: 15
; COMPUTE_PGM_RSRC2:TRAP_HANDLER: 0
; COMPUTE_PGM_RSRC2:TGID_X_EN: 1
; COMPUTE_PGM_RSRC2:TGID_Y_EN: 0
; COMPUTE_PGM_RSRC2:TGID_Z_EN: 0
; COMPUTE_PGM_RSRC2:TIDIG_COMP_CNT: 0
	.section	.text._ZN4vllm32dynamic_scaled_int8_quant_kernelIN3c104HalfEfEEvPKT_PaPT0_i,"axG",@progbits,_ZN4vllm32dynamic_scaled_int8_quant_kernelIN3c104HalfEfEEvPKT_PaPT0_i,comdat
	.protected	_ZN4vllm32dynamic_scaled_int8_quant_kernelIN3c104HalfEfEEvPKT_PaPT0_i ; -- Begin function _ZN4vllm32dynamic_scaled_int8_quant_kernelIN3c104HalfEfEEvPKT_PaPT0_i
	.globl	_ZN4vllm32dynamic_scaled_int8_quant_kernelIN3c104HalfEfEEvPKT_PaPT0_i
	.p2align	8
	.type	_ZN4vllm32dynamic_scaled_int8_quant_kernelIN3c104HalfEfEEvPKT_PaPT0_i,@function
_ZN4vllm32dynamic_scaled_int8_quant_kernelIN3c104HalfEfEEvPKT_PaPT0_i: ; @_ZN4vllm32dynamic_scaled_int8_quant_kernelIN3c104HalfEfEEvPKT_PaPT0_i
; %bb.0:
	s_clause 0x2
	s_load_b32 s21, s[0:1], 0x18
	s_load_b32 s2, s[0:1], 0x2c
	s_load_b64 s[8:9], s[0:1], 0x0
	s_mov_b32 s7, 0
	s_mov_b32 s16, s15
	s_waitcnt lgkmcnt(0)
	s_ashr_i32 s3, s21, 31
	s_mul_hi_u32 s4, s21, s15
	s_mul_i32 s3, s3, s15
	s_mul_i32 s12, s21, s15
	s_add_i32 s13, s4, s3
	s_and_b32 s20, s2, 0xffff
	s_lshl_b64 s[10:11], s[12:13], 1
	s_delay_alu instid0(SALU_CYCLE_1) | instskip(SKIP_2) | instid1(SALU_CYCLE_1)
	s_add_u32 s22, s8, s10
	s_addc_u32 s23, s9, s11
	s_and_b32 s6, s22, 31
	s_cmp_lg_u64 s[6:7], 0
	s_cselect_b32 s2, -1, 0
	s_and_b32 s3, s21, 15
	s_delay_alu instid0(SALU_CYCLE_1) | instskip(SKIP_1) | instid1(SALU_CYCLE_1)
	s_cmp_lg_u32 s3, 0
	s_cselect_b32 s3, -1, 0
	s_or_b32 s18, s3, s2
	s_delay_alu instid0(SALU_CYCLE_1)
	s_and_b32 vcc_lo, exec_lo, s18
	s_cbranch_vccz .LBB8_14
; %bb.1:
	s_sub_i32 s2, 0, s22
	v_mov_b32_e32 v4, 0
	s_bfe_u32 s2, s2, 0x40001
	s_mov_b32 s3, exec_lo
	s_min_i32 s4, s2, s21
	s_delay_alu instid0(SALU_CYCLE_1)
	v_cmpx_gt_i32_e64 s4, v0
	s_cbranch_execz .LBB8_5
; %bb.2:
	v_dual_mov_b32 v4, 0 :: v_dual_lshlrev_b32 v1, 1, v0
	s_add_u32 s2, s8, s10
	s_addc_u32 s5, s9, s11
	v_mov_b32_e32 v3, v0
	s_delay_alu instid0(VALU_DEP_2) | instskip(NEXT) | instid1(VALU_DEP_1)
	v_add_co_u32 v1, s2, s2, v1
	v_add_co_ci_u32_e64 v2, null, s5, 0, s2
	s_mov_b32 s5, 0
	s_lshl_b32 s6, s20, 1
.LBB8_3:                                ; =>This Inner Loop Header: Depth=1
	global_load_u16 v5, v[1:2], off
	v_dual_max_f32 v4, v4, v4 :: v_dual_add_nc_u32 v3, s20, v3
	v_add_co_u32 v1, vcc_lo, v1, s6
	v_add_co_ci_u32_e32 v2, vcc_lo, 0, v2, vcc_lo
	s_delay_alu instid0(VALU_DEP_3) | instskip(NEXT) | instid1(VALU_DEP_1)
	v_cmp_le_i32_e64 s2, s4, v3
	s_or_b32 s5, s2, s5
	s_waitcnt vmcnt(0)
	v_cvt_f32_f16_e64 v5, |v5|
	s_delay_alu instid0(VALU_DEP_1)
	v_max_f32_e32 v4, v4, v5
	s_and_not1_b32 exec_lo, exec_lo, s5
	s_cbranch_execnz .LBB8_3
; %bb.4:
	s_or_b32 exec_lo, exec_lo, s5
.LBB8_5:
	s_delay_alu instid0(SALU_CYCLE_1)
	s_or_b32 exec_lo, exec_lo, s3
	s_sub_i32 s3, s21, s4
	s_ashr_i32 s5, s4, 31
	s_ashr_i32 s2, s3, 31
	s_mov_b32 s14, exec_lo
	s_lshr_b32 s2, s2, 28
	s_delay_alu instid0(SALU_CYCLE_1) | instskip(NEXT) | instid1(SALU_CYCLE_1)
	s_add_i32 s2, s3, s2
	s_ashr_i32 s6, s2, 4
	s_delay_alu instid0(SALU_CYCLE_1)
	v_cmpx_gt_i32_e64 s6, v0
	s_cbranch_execz .LBB8_9
; %bb.6:
	s_lshl_b64 s[24:25], s[4:5], 1
	v_lshlrev_b32_e32 v1, 5, v0
	s_add_u32 s2, s8, s24
	s_addc_u32 s15, s9, s25
	s_add_u32 s2, s2, s10
	s_addc_u32 s15, s15, s11
	v_add_co_u32 v1, s2, s2, v1
	s_delay_alu instid0(VALU_DEP_1)
	v_add_co_ci_u32_e64 v2, null, s15, 0, s2
	v_mov_b32_e32 v3, v0
	s_mov_b32 s15, 0
	s_lshl_b32 s17, s20, 5
.LBB8_7:                                ; =>This Inner Loop Header: Depth=1
	s_clause 0x1
	global_load_b128 v[5:8], v[1:2], off
	global_load_b128 v[9:12], v[1:2], off offset:16
	v_add_nc_u32_e32 v3, s20, v3
	v_add_co_u32 v1, vcc_lo, v1, s17
	v_add_co_ci_u32_e32 v2, vcc_lo, 0, v2, vcc_lo
	s_delay_alu instid0(VALU_DEP_3) | instskip(NEXT) | instid1(VALU_DEP_1)
	v_cmp_le_i32_e64 s2, s6, v3
	s_or_b32 s15, s2, s15
	s_waitcnt vmcnt(1)
	v_lshrrev_b32_e32 v13, 16, v5
	v_lshrrev_b32_e32 v14, 16, v6
	v_cvt_f32_f16_e64 v5, |v5|
	v_lshrrev_b32_e32 v15, 16, v7
	v_cvt_f32_f16_e64 v6, |v6|
	v_cvt_f32_f16_e64 v13, |v13|
	;; [unrolled: 1-line block ×4, first 2 shown]
	s_delay_alu instid0(VALU_DEP_3) | instskip(SKIP_2) | instid1(VALU_DEP_3)
	v_max3_f32 v4, v4, v5, v13
	v_lshrrev_b32_e32 v5, 16, v8
	v_cvt_f32_f16_e64 v13, |v15|
	v_max3_f32 v4, v4, v6, v14
	v_cvt_f32_f16_e64 v6, |v8|
	s_waitcnt vmcnt(0)
	v_lshrrev_b32_e32 v8, 16, v9
	v_cvt_f32_f16_e64 v5, |v5|
	v_cvt_f32_f16_e64 v9, |v9|
	v_max3_f32 v4, v4, v7, v13
	v_lshrrev_b32_e32 v7, 16, v10
	v_cvt_f32_f16_e64 v8, |v8|
	s_delay_alu instid0(VALU_DEP_3) | instskip(SKIP_3) | instid1(VALU_DEP_4)
	v_max3_f32 v4, v4, v6, v5
	v_lshrrev_b32_e32 v5, 16, v11
	v_cvt_f32_f16_e64 v6, |v10|
	v_cvt_f32_f16_e64 v7, |v7|
	v_max3_f32 v4, v4, v9, v8
	v_lshrrev_b32_e32 v8, 16, v12
	v_cvt_f32_f16_e64 v9, |v11|
	v_cvt_f32_f16_e64 v5, |v5|
	s_delay_alu instid0(VALU_DEP_4) | instskip(SKIP_2) | instid1(VALU_DEP_3)
	v_max3_f32 v4, v4, v6, v7
	v_cvt_f32_f16_e64 v6, |v12|
	v_cvt_f32_f16_e64 v7, |v8|
	v_max3_f32 v4, v4, v9, v5
	s_delay_alu instid0(VALU_DEP_1)
	v_max3_f32 v4, v4, v6, v7
	s_and_not1_b32 exec_lo, exec_lo, s15
	s_cbranch_execnz .LBB8_7
; %bb.8:
	s_or_b32 exec_lo, exec_lo, s15
.LBB8_9:
	s_delay_alu instid0(SALU_CYCLE_1) | instskip(SKIP_2) | instid1(VALU_DEP_1)
	s_or_b32 exec_lo, exec_lo, s14
	v_lshl_add_u32 v1, s6, 4, v0
	s_mov_b32 s6, exec_lo
	v_cmpx_gt_i32_e64 s3, v1
	s_cbranch_execz .LBB8_13
; %bb.10:
	v_ashrrev_i32_e32 v2, 31, v1
	s_lshl_b64 s[4:5], s[4:5], 1
	s_delay_alu instid0(SALU_CYCLE_1) | instskip(SKIP_1) | instid1(VALU_DEP_1)
	s_add_u32 s2, s10, s4
	s_addc_u32 s4, s11, s5
	v_lshlrev_b64 v[2:3], 1, v[1:2]
	s_add_u32 s2, s8, s2
	s_addc_u32 s4, s9, s4
	s_lshl_b32 s5, s20, 1
	s_delay_alu instid0(VALU_DEP_1) | instskip(NEXT) | instid1(VALU_DEP_2)
	v_add_co_u32 v2, vcc_lo, s2, v2
	v_add_co_ci_u32_e32 v3, vcc_lo, s4, v3, vcc_lo
	s_mov_b32 s4, 0
.LBB8_11:                               ; =>This Inner Loop Header: Depth=1
	global_load_u16 v5, v[2:3], off
	v_dual_max_f32 v4, v4, v4 :: v_dual_add_nc_u32 v1, s20, v1
	v_add_co_u32 v2, vcc_lo, v2, s5
	v_add_co_ci_u32_e32 v3, vcc_lo, 0, v3, vcc_lo
	s_delay_alu instid0(VALU_DEP_3) | instskip(NEXT) | instid1(VALU_DEP_1)
	v_cmp_le_i32_e64 s2, s3, v1
	s_or_b32 s4, s2, s4
	s_waitcnt vmcnt(0)
	v_cvt_f32_f16_e64 v5, |v5|
	s_delay_alu instid0(VALU_DEP_1)
	v_max_f32_e32 v4, v4, v5
	s_and_not1_b32 exec_lo, exec_lo, s4
	s_cbranch_execnz .LBB8_11
; %bb.12:
	s_or_b32 exec_lo, exec_lo, s4
.LBB8_13:
	s_delay_alu instid0(SALU_CYCLE_1)
	s_or_b32 exec_lo, exec_lo, s6
	s_branch .LBB8_20
.LBB8_14:
                                        ; implicit-def: $vgpr4
	s_cbranch_execz .LBB8_20
; %bb.15:
	v_mov_b32_e32 v4, 0
	s_ashr_i32 s4, s21, 4
	s_mov_b32 s3, exec_lo
	v_cmpx_gt_i32_e64 s4, v0
	s_cbranch_execz .LBB8_19
; %bb.16:
	v_dual_mov_b32 v4, 0 :: v_dual_lshlrev_b32 v1, 5, v0
	s_add_u32 s2, s8, s10
	s_addc_u32 s5, s9, s11
	v_mov_b32_e32 v3, v0
	s_delay_alu instid0(VALU_DEP_2) | instskip(NEXT) | instid1(VALU_DEP_1)
	v_add_co_u32 v1, s2, s2, v1
	v_add_co_ci_u32_e64 v2, null, s5, 0, s2
	s_mov_b32 s5, 0
	s_lshl_b32 s6, s20, 5
.LBB8_17:                               ; =>This Inner Loop Header: Depth=1
	s_clause 0x1
	global_load_b128 v[5:8], v[1:2], off
	global_load_b128 v[9:12], v[1:2], off offset:16
	v_add_nc_u32_e32 v3, s20, v3
	v_add_co_u32 v1, vcc_lo, v1, s6
	v_add_co_ci_u32_e32 v2, vcc_lo, 0, v2, vcc_lo
	s_delay_alu instid0(VALU_DEP_3) | instskip(NEXT) | instid1(VALU_DEP_1)
	v_cmp_le_i32_e64 s2, s4, v3
	s_or_b32 s5, s2, s5
	s_waitcnt vmcnt(1)
	v_lshrrev_b32_e32 v13, 16, v5
	v_lshrrev_b32_e32 v14, 16, v6
	v_cvt_f32_f16_e64 v5, |v5|
	v_lshrrev_b32_e32 v15, 16, v7
	v_cvt_f32_f16_e64 v6, |v6|
	v_cvt_f32_f16_e64 v13, |v13|
	;; [unrolled: 1-line block ×4, first 2 shown]
	s_delay_alu instid0(VALU_DEP_3) | instskip(SKIP_3) | instid1(VALU_DEP_4)
	v_max3_f32 v4, v4, v5, v13
	v_lshrrev_b32_e32 v5, 16, v8
	v_cvt_f32_f16_e64 v13, |v15|
	v_cvt_f32_f16_e64 v8, |v8|
	v_max3_f32 v4, v4, v6, v14
	s_waitcnt vmcnt(0)
	v_lshrrev_b32_e32 v6, 16, v9
	v_cvt_f32_f16_e64 v5, |v5|
	v_cvt_f32_f16_e64 v9, |v9|
	v_max3_f32 v4, v4, v7, v13
	v_lshrrev_b32_e32 v7, 16, v10
	v_cvt_f32_f16_e64 v6, |v6|
	s_delay_alu instid0(VALU_DEP_3) | instskip(SKIP_3) | instid1(VALU_DEP_4)
	v_max3_f32 v4, v4, v8, v5
	v_lshrrev_b32_e32 v5, 16, v11
	v_cvt_f32_f16_e64 v8, |v10|
	v_cvt_f32_f16_e64 v7, |v7|
	v_max3_f32 v4, v4, v9, v6
	v_lshrrev_b32_e32 v6, 16, v12
	v_cvt_f32_f16_e64 v9, |v11|
	v_cvt_f32_f16_e64 v5, |v5|
	s_delay_alu instid0(VALU_DEP_4) | instskip(SKIP_2) | instid1(VALU_DEP_3)
	v_max3_f32 v4, v4, v8, v7
	v_cvt_f32_f16_e64 v7, |v12|
	v_cvt_f32_f16_e64 v6, |v6|
	v_max3_f32 v4, v4, v9, v5
	s_delay_alu instid0(VALU_DEP_1)
	v_max3_f32 v4, v4, v7, v6
	s_and_not1_b32 exec_lo, exec_lo, s5
	s_cbranch_execnz .LBB8_17
; %bb.18:
	s_or_b32 exec_lo, exec_lo, s5
.LBB8_19:
	s_delay_alu instid0(SALU_CYCLE_1)
	s_or_b32 exec_lo, exec_lo, s3
.LBB8_20:
	v_mbcnt_lo_u32_b32 v1, -1, 0
	s_delay_alu instid0(VALU_DEP_1)
	v_cmp_ne_u32_e32 vcc_lo, 31, v1
	v_add_nc_u32_e32 v6, 1, v1
	v_cmp_gt_u32_e64 s2, 28, v1
	v_add_nc_u32_e32 v7, 2, v1
	v_cmp_gt_u32_e64 s3, 24, v1
	v_add_co_ci_u32_e32 v2, vcc_lo, 0, v1, vcc_lo
	v_cmp_gt_u32_e32 vcc_lo, 30, v1
	v_cmp_gt_u32_e64 s4, 16, v1
	s_delay_alu instid0(VALU_DEP_3)
	v_lshlrev_b32_e32 v2, 2, v2
	v_cndmask_b32_e64 v5, 0, 1, vcc_lo
	ds_bpermute_b32 v2, v2, v4
	s_waitcnt lgkmcnt(0)
	v_cmp_lt_f32_e32 vcc_lo, v4, v2
	v_dual_cndmask_b32 v2, v4, v2 :: v_dual_and_b32 v3, 0x3e0, v0
	s_delay_alu instid0(VALU_DEP_1) | instskip(NEXT) | instid1(VALU_DEP_1)
	v_sub_nc_u32_e64 v3, s20, v3 clamp
	v_cmp_lt_u32_e32 vcc_lo, v6, v3
	v_lshlrev_b32_e32 v5, 1, v5
	v_cndmask_b32_e64 v6, 0, 1, s2
	v_cndmask_b32_e32 v2, v4, v2, vcc_lo
	s_delay_alu instid0(VALU_DEP_3) | instskip(NEXT) | instid1(VALU_DEP_3)
	v_add_lshl_u32 v5, v5, v1, 2
	v_lshlrev_b32_e32 v6, 2, v6
	ds_bpermute_b32 v5, v5, v2
	v_add_lshl_u32 v6, v6, v1, 2
	s_waitcnt lgkmcnt(0)
	v_cmp_lt_f32_e64 s2, v2, v5
	s_delay_alu instid0(VALU_DEP_1) | instskip(SKIP_2) | instid1(VALU_DEP_2)
	v_cndmask_b32_e64 v5, v2, v5, s2
	v_cmp_lt_u32_e64 s2, v7, v3
	v_add_nc_u32_e32 v7, 4, v1
	v_cndmask_b32_e64 v2, v2, v5, s2
	s_or_b32 s2, vcc_lo, s2
	ds_bpermute_b32 v5, v6, v2
	v_cndmask_b32_e64 v6, 0, 1, s3
	s_delay_alu instid0(VALU_DEP_1) | instskip(NEXT) | instid1(VALU_DEP_1)
	v_lshlrev_b32_e32 v6, 3, v6
	v_add_lshl_u32 v6, v6, v1, 2
	s_waitcnt lgkmcnt(0)
	v_cmp_lt_f32_e64 s3, v2, v5
	s_delay_alu instid0(VALU_DEP_1) | instskip(SKIP_2) | instid1(VALU_DEP_2)
	v_cndmask_b32_e64 v5, v2, v5, s3
	v_cmp_lt_u32_e64 s3, v7, v3
	v_add_nc_u32_e32 v7, 8, v1
	v_cndmask_b32_e64 v2, v2, v5, s3
	s_or_b32 s2, s3, s2
	ds_bpermute_b32 v5, v6, v2
	v_cndmask_b32_e64 v6, 0, 1, s4
	s_delay_alu instid0(VALU_DEP_1) | instskip(NEXT) | instid1(VALU_DEP_1)
	v_lshlrev_b32_e32 v6, 4, v6
	v_add_lshl_u32 v6, v6, v1, 2
	s_waitcnt lgkmcnt(0)
	v_cmp_lt_f32_e64 s4, v2, v5
	s_delay_alu instid0(VALU_DEP_1) | instskip(SKIP_1) | instid1(VALU_DEP_1)
	v_cndmask_b32_e64 v5, v2, v5, s4
	v_cmp_lt_u32_e64 s4, v7, v3
	v_cndmask_b32_e64 v2, v2, v5, s4
	s_or_b32 s2, s4, s2
	ds_bpermute_b32 v5, v6, v2
	v_add_nc_u32_e32 v6, 16, v1
	s_delay_alu instid0(VALU_DEP_1) | instskip(SKIP_2) | instid1(VALU_DEP_1)
	v_cmp_lt_u32_e64 s5, v6, v3
	s_waitcnt lgkmcnt(0)
	v_cmp_lt_f32_e64 s6, v2, v5
	s_and_b32 vcc_lo, s5, s6
	v_cndmask_b32_e32 v2, v2, v5, vcc_lo
	s_or_b32 vcc_lo, s5, s2
	s_mov_b32 s2, exec_lo
	s_delay_alu instid0(VALU_DEP_1)
	v_cndmask_b32_e32 v2, v4, v2, vcc_lo
	v_cmpx_eq_u32_e32 0, v1
	s_cbranch_execz .LBB8_22
; %bb.21:
	v_lshrrev_b32_e32 v3, 3, v0
	s_delay_alu instid0(VALU_DEP_1)
	v_and_b32_e32 v3, 0x7c, v3
	ds_store_b32 v3, v2
.LBB8_22:
	s_or_b32 exec_lo, exec_lo, s2
	s_delay_alu instid0(SALU_CYCLE_1)
	s_mov_b32 s4, exec_lo
	s_waitcnt lgkmcnt(0)
	s_barrier
	buffer_gl0_inv
	v_cmpx_gt_u32_e32 8, v0
	s_cbranch_execz .LBB8_24
; %bb.23:
	v_lshlrev_b32_e32 v2, 2, v1
	s_add_i32 s2, s20, 31
	s_delay_alu instid0(SALU_CYCLE_1) | instskip(SKIP_2) | instid1(VALU_DEP_1)
	s_lshr_b32 s3, s2, 5
	ds_load_b32 v2, v2
	v_and_b32_e32 v3, 7, v1
	v_cmp_ne_u32_e32 vcc_lo, 7, v3
	v_add_co_ci_u32_e32 v4, vcc_lo, 0, v1, vcc_lo
	v_cmp_gt_u32_e32 vcc_lo, 6, v3
	s_delay_alu instid0(VALU_DEP_2)
	v_lshlrev_b32_e32 v4, 2, v4
	v_cndmask_b32_e64 v5, 0, 1, vcc_lo
	s_waitcnt lgkmcnt(0)
	ds_bpermute_b32 v4, v4, v2
	s_waitcnt lgkmcnt(0)
	v_cmp_lt_f32_e32 vcc_lo, v2, v4
	v_cndmask_b32_e32 v4, v2, v4, vcc_lo
	v_add_nc_u32_e32 v6, 1, v3
	v_cmp_gt_u32_e64 s2, 4, v3
	v_add_nc_u32_e32 v8, 2, v3
	v_add_nc_u32_e32 v3, 4, v3
	s_delay_alu instid0(VALU_DEP_4) | instskip(SKIP_3) | instid1(VALU_DEP_3)
	v_cmp_gt_u32_e32 vcc_lo, s3, v6
	v_lshlrev_b32_e32 v5, 1, v5
	v_cndmask_b32_e64 v7, 0, 1, s2
	v_cndmask_b32_e32 v6, v2, v4, vcc_lo
	v_add_lshl_u32 v5, v5, v1, 2
	s_delay_alu instid0(VALU_DEP_3) | instskip(SKIP_4) | instid1(VALU_DEP_1)
	v_lshlrev_b32_e32 v7, 2, v7
	ds_bpermute_b32 v5, v5, v6
	v_add_lshl_u32 v1, v7, v1, 2
	s_waitcnt lgkmcnt(0)
	v_cmp_lt_f32_e64 s2, v6, v5
	v_cndmask_b32_e64 v5, v6, v5, s2
	v_cmp_gt_u32_e64 s2, s3, v8
	s_delay_alu instid0(VALU_DEP_1)
	v_cndmask_b32_e64 v6, v6, v5, s2
	v_cndmask_b32_e64 v4, v4, v5, s2
	v_cmp_gt_u32_e64 s2, s3, v3
	ds_bpermute_b32 v1, v1, v6
	s_waitcnt lgkmcnt(0)
	v_cmp_lt_f32_e64 s3, v4, v1
	s_delay_alu instid0(VALU_DEP_1) | instskip(NEXT) | instid1(SALU_CYCLE_1)
	s_and_b32 s2, s2, s3
	v_cndmask_b32_e64 v1, v4, v1, s2
	s_delay_alu instid0(VALU_DEP_1)
	v_cndmask_b32_e32 v2, v2, v1, vcc_lo
.LBB8_24:
	s_or_b32 exec_lo, exec_lo, s4
	s_load_b64 s[14:15], s[0:1], 0x8
	s_mov_b32 s2, exec_lo
	v_cmpx_eq_u32_e32 0, v0
	s_cbranch_execz .LBB8_26
; %bb.25:
	v_div_scale_f32 v1, null, 0x42fe0000, 0x42fe0000, v2
	v_div_scale_f32 v5, vcc_lo, v2, 0x42fe0000, v2
	s_load_b64 s[0:1], s[0:1], 0x10
	s_delay_alu instid0(VALU_DEP_2) | instskip(SKIP_1) | instid1(SALU_CYCLE_1)
	v_rcp_f32_e32 v3, v1
	s_mov_b32 s17, s7
	s_lshl_b64 s[4:5], s[16:17], 2
	s_waitcnt_depctr 0xfff
	v_fma_f32 v4, -v1, v3, 1.0
	s_delay_alu instid0(VALU_DEP_1) | instskip(SKIP_2) | instid1(VALU_DEP_1)
	v_fmac_f32_e32 v3, v4, v3
	s_waitcnt lgkmcnt(0)
	s_add_u32 s0, s0, s4
	v_mul_f32_e32 v4, v5, v3
	s_addc_u32 s1, s1, s5
	s_delay_alu instid0(VALU_DEP_1) | instskip(NEXT) | instid1(VALU_DEP_1)
	v_fma_f32 v6, -v1, v4, v5
	v_fmac_f32_e32 v4, v6, v3
	s_delay_alu instid0(VALU_DEP_1) | instskip(NEXT) | instid1(VALU_DEP_1)
	v_fma_f32 v1, -v1, v4, v5
	v_div_fmas_f32 v1, v1, v3, v4
	v_mov_b32_e32 v3, 0
	s_delay_alu instid0(VALU_DEP_2)
	v_div_fixup_f32 v1, v1, 0x42fe0000, v2
	ds_store_b32 v3, v2 offset:32
	global_store_b32 v3, v1, s[0:1]
.LBB8_26:
	s_or_b32 exec_lo, exec_lo, s2
	v_mov_b32_e32 v1, 0
	s_waitcnt lgkmcnt(0)
	s_waitcnt_vscnt null, 0x0
	s_barrier
	buffer_gl0_inv
	s_mov_b32 s0, -1
	ds_load_b32 v1, v1 offset:32
	s_waitcnt lgkmcnt(0)
	v_div_scale_f32 v2, null, v1, v1, 0x42fe0000
	v_div_scale_f32 v5, vcc_lo, 0x42fe0000, v1, 0x42fe0000
	s_delay_alu instid0(VALU_DEP_2) | instskip(SKIP_2) | instid1(VALU_DEP_1)
	v_rcp_f32_e32 v3, v2
	s_waitcnt_depctr 0xfff
	v_fma_f32 v4, -v2, v3, 1.0
	v_fmac_f32_e32 v3, v4, v3
	s_delay_alu instid0(VALU_DEP_1) | instskip(NEXT) | instid1(VALU_DEP_1)
	v_mul_f32_e32 v4, v5, v3
	v_fma_f32 v6, -v2, v4, v5
	s_delay_alu instid0(VALU_DEP_1) | instskip(NEXT) | instid1(VALU_DEP_1)
	v_fmac_f32_e32 v4, v6, v3
	v_fma_f32 v2, -v2, v4, v5
	s_delay_alu instid0(VALU_DEP_1) | instskip(SKIP_1) | instid1(VALU_DEP_2)
	v_div_fmas_f32 v2, v2, v3, v4
	v_cmp_neq_f32_e32 vcc_lo, 0, v1
	v_div_fixup_f32 v2, v2, v1, 0x42fe0000
	s_delay_alu instid0(VALU_DEP_1)
	v_cndmask_b32_e32 v5, 0, v2, vcc_lo
	s_and_b32 vcc_lo, exec_lo, s18
	s_cbranch_vccz .LBB8_47
; %bb.27:
	s_add_u32 s18, s14, s12
	s_addc_u32 s19, s15, s13
	s_sub_i32 s0, 0, s22
	v_cvt_f32_u32_e32 v6, s20
	s_bfe_u32 s0, s0, 0x40001
	s_mov_b32 s1, exec_lo
	s_min_i32 s16, s0, s21
	s_delay_alu instid0(SALU_CYCLE_1)
	v_cmpx_gt_i32_e64 s16, v0
	s_cbranch_execz .LBB8_35
; %bb.28:
	v_rcp_iflag_f32_e32 v1, v6
	s_sub_i32 s0, 0, s20
	v_add_nc_u32_e32 v3, s20, v0
	s_cmp_eq_u32 s20, 1
	s_mov_b32 s2, -1
	s_delay_alu instid0(VALU_DEP_1) | instskip(SKIP_3) | instid1(VALU_DEP_1)
	v_cmp_gt_i32_e32 vcc_lo, s16, v3
	v_max_i32_e32 v4, s16, v3
	s_waitcnt_depctr 0xfff
	v_mul_f32_e32 v1, 0x4f7ffffe, v1
	v_cvt_u32_f32_e32 v1, v1
	s_delay_alu instid0(VALU_DEP_1) | instskip(SKIP_1) | instid1(VALU_DEP_1)
	v_mul_lo_u32 v2, s0, v1
	v_add_co_ci_u32_e64 v3, s0, s20, v0, vcc_lo
	v_sub_nc_u32_e32 v3, v4, v3
	s_delay_alu instid0(VALU_DEP_3) | instskip(NEXT) | instid1(VALU_DEP_1)
	v_mul_hi_u32 v2, v1, v2
	v_add_nc_u32_e32 v1, v1, v2
	s_delay_alu instid0(VALU_DEP_1) | instskip(NEXT) | instid1(VALU_DEP_1)
	v_mul_hi_u32 v1, v3, v1
	v_mul_lo_u32 v2, v1, s20
	s_delay_alu instid0(VALU_DEP_1) | instskip(SKIP_1) | instid1(VALU_DEP_2)
	v_sub_nc_u32_e32 v2, v3, v2
	v_add_nc_u32_e32 v3, 1, v1
	v_subrev_nc_u32_e32 v4, s20, v2
	v_cmp_le_u32_e64 s0, s20, v2
	s_delay_alu instid0(VALU_DEP_1) | instskip(NEXT) | instid1(VALU_DEP_3)
	v_cndmask_b32_e64 v1, v1, v3, s0
	v_cndmask_b32_e64 v2, v2, v4, s0
	s_delay_alu instid0(VALU_DEP_2) | instskip(NEXT) | instid1(VALU_DEP_2)
	v_add_nc_u32_e32 v3, 1, v1
	v_cmp_le_u32_e64 s0, s20, v2
	s_delay_alu instid0(VALU_DEP_1) | instskip(SKIP_1) | instid1(VALU_DEP_1)
	v_cndmask_b32_e64 v1, v1, v3, s0
	s_cselect_b32 s0, -1, 0
	v_add_co_ci_u32_e32 v3, vcc_lo, 1, v1, vcc_lo
	v_mov_b32_e32 v1, v0
	s_delay_alu instid0(VALU_DEP_2) | instskip(SKIP_1) | instid1(SALU_CYCLE_1)
	v_cmp_lt_u32_e32 vcc_lo, 1, v3
	s_and_b32 s3, vcc_lo, s0
	s_and_saveexec_b32 s0, s3
	s_cbranch_execz .LBB8_32
; %bb.29:
	v_dual_mov_b32 v1, v0 :: v_dual_and_b32 v4, -2, v3
	v_mov_b32_e32 v2, 0
	s_mov_b32 s2, 0
	s_delay_alu instid0(VALU_DEP_2)
	v_mov_b32_e32 v7, v4
	s_set_inst_prefetch_distance 0x1
	.p2align	6
.LBB8_30:                               ; =>This Inner Loop Header: Depth=1
	s_delay_alu instid0(VALU_DEP_1) | instskip(NEXT) | instid1(VALU_DEP_2)
	v_lshlrev_b64 v[8:9], 1, v[1:2]
	v_add_nc_u32_e32 v7, -2, v7
	s_delay_alu instid0(VALU_DEP_2) | instskip(NEXT) | instid1(VALU_DEP_3)
	v_add_co_u32 v8, vcc_lo, s22, v8
	v_add_co_ci_u32_e32 v9, vcc_lo, s23, v9, vcc_lo
	global_load_b32 v8, v[8:9], off
	s_waitcnt vmcnt(0)
	v_lshrrev_b32_e32 v9, 16, v8
	v_cvt_f32_f16_e32 v8, v8
	s_delay_alu instid0(VALU_DEP_2) | instskip(NEXT) | instid1(VALU_DEP_1)
	v_cvt_f32_f16_e32 v9, v9
	v_mul_f32_e32 v9, v5, v9
	s_delay_alu instid0(VALU_DEP_1) | instskip(NEXT) | instid1(VALU_DEP_4)
	v_rndne_f32_e32 v9, v9
	v_mul_f32_e32 v8, v5, v8
	s_delay_alu instid0(VALU_DEP_1) | instskip(NEXT) | instid1(VALU_DEP_1)
	v_rndne_f32_e32 v8, v8
	v_cmp_nlt_f32_e32 vcc_lo, 0x42fe0000, v8
	v_cndmask_b32_e32 v10, 0x42fe0000, v8, vcc_lo
	v_cmp_nlt_f32_e32 vcc_lo, 0x42fe0000, v9
	v_cndmask_b32_e32 v11, 0x42fe0000, v9, vcc_lo
	v_cmp_ngt_f32_e32 vcc_lo, 0xc3000000, v8
	s_delay_alu instid0(VALU_DEP_4) | instskip(SKIP_1) | instid1(VALU_DEP_2)
	v_cndmask_b32_e32 v8, 0xc3000000, v10, vcc_lo
	v_cmp_ngt_f32_e32 vcc_lo, 0xc3000000, v9
	v_cvt_i32_f32_e32 v8, v8
	v_cndmask_b32_e32 v9, 0xc3000000, v11, vcc_lo
	v_cmp_eq_u32_e32 vcc_lo, 0, v7
	s_delay_alu instid0(VALU_DEP_3) | instskip(NEXT) | instid1(VALU_DEP_3)
	v_and_b32_e32 v8, 0xff, v8
	v_cvt_i32_f32_e32 v9, v9
	s_or_b32 s2, vcc_lo, s2
	s_delay_alu instid0(VALU_DEP_1) | instskip(NEXT) | instid1(VALU_DEP_1)
	v_lshlrev_b16 v9, 8, v9
	v_or_b32_e32 v8, v8, v9
	global_store_b16 v1, v8, s[18:19]
	v_add_nc_u32_e32 v1, 2, v1
	s_and_not1_b32 exec_lo, exec_lo, s2
	s_cbranch_execnz .LBB8_30
; %bb.31:
	s_set_inst_prefetch_distance 0x2
	s_or_b32 exec_lo, exec_lo, s2
	v_cmp_ne_u32_e32 vcc_lo, v3, v4
	v_add_nc_u32_e32 v1, v0, v4
	s_or_not1_b32 s2, vcc_lo, exec_lo
.LBB8_32:
	s_or_b32 exec_lo, exec_lo, s0
	s_delay_alu instid0(SALU_CYCLE_1)
	s_and_b32 exec_lo, exec_lo, s2
	s_cbranch_execz .LBB8_35
; %bb.33:
	v_mov_b32_e32 v2, 0
	s_add_u32 s0, s8, s10
	s_addc_u32 s2, s9, s11
	s_lshl_b32 s3, s20, 1
	s_delay_alu instid0(VALU_DEP_1) | instskip(NEXT) | instid1(VALU_DEP_1)
	v_lshlrev_b64 v[3:4], 1, v[1:2]
	v_add_co_u32 v3, vcc_lo, s0, v3
	s_delay_alu instid0(VALU_DEP_2)
	v_add_co_ci_u32_e32 v4, vcc_lo, s2, v4, vcc_lo
	s_mov_b32 s2, 0
	.p2align	6
.LBB8_34:                               ; =>This Inner Loop Header: Depth=1
	global_load_u16 v7, v[3:4], off
	s_waitcnt vmcnt(0)
	v_cvt_f32_f16_e32 v8, v7
	v_add_co_u32 v7, vcc_lo, s18, v1
	s_delay_alu instid0(VALU_DEP_2) | instskip(SKIP_2) | instid1(VALU_DEP_3)
	v_mul_f32_e32 v9, v5, v8
	v_add_co_ci_u32_e32 v8, vcc_lo, s19, v2, vcc_lo
	v_add_co_u32 v1, vcc_lo, v1, s20
	v_rndne_f32_e32 v9, v9
	v_add_co_ci_u32_e32 v2, vcc_lo, 0, v2, vcc_lo
	s_delay_alu instid0(VALU_DEP_2) | instskip(SKIP_1) | instid1(VALU_DEP_2)
	v_cmp_nlt_f32_e64 s0, 0x42fe0000, v9
	v_cmp_ngt_f32_e32 vcc_lo, 0xc3000000, v9
	v_cndmask_b32_e64 v10, 0x42fe0000, v9, s0
	v_cmp_le_i32_e64 s0, s16, v1
	s_delay_alu instid0(VALU_DEP_2) | instskip(SKIP_2) | instid1(VALU_DEP_3)
	v_cndmask_b32_e32 v9, 0xc3000000, v10, vcc_lo
	v_add_co_u32 v3, vcc_lo, v3, s3
	v_add_co_ci_u32_e32 v4, vcc_lo, 0, v4, vcc_lo
	v_cvt_i32_f32_e32 v9, v9
	s_or_b32 s2, s0, s2
	global_store_b8 v[7:8], v9, off
	s_and_not1_b32 exec_lo, exec_lo, s2
	s_cbranch_execnz .LBB8_34
.LBB8_35:
	s_or_b32 exec_lo, exec_lo, s1
	s_sub_i32 s24, s21, s16
	s_ashr_i32 s17, s16, 31
	s_ashr_i32 s0, s24, 31
	s_mov_b32 s26, exec_lo
	s_lshr_b32 s0, s0, 28
	s_delay_alu instid0(SALU_CYCLE_1) | instskip(NEXT) | instid1(SALU_CYCLE_1)
	s_add_i32 s0, s24, s0
	s_ashr_i32 s25, s0, 4
	s_delay_alu instid0(SALU_CYCLE_1)
	v_cmpx_gt_i32_e64 s25, v0
	s_cbranch_execz .LBB8_38
; %bb.36:
	v_lshlrev_b32_e32 v1, 4, v0
	s_add_u32 s0, s16, s12
	s_addc_u32 s1, s17, s13
	s_add_u32 s0, s14, s0
	s_addc_u32 s1, s15, s1
	v_add_co_u32 v1, s0, s0, v1
	s_delay_alu instid0(VALU_DEP_1)
	v_add_co_ci_u32_e64 v2, null, s1, 0, s0
	s_lshl_b64 s[0:1], s[16:17], 1
	s_lshl_b32 s27, s20, 4
	v_lshlrev_b32_e32 v3, 5, v0
	s_add_u32 s0, s8, s0
	s_addc_u32 s1, s9, s1
	s_add_u32 s0, s0, s10
	s_addc_u32 s1, s1, s11
	v_add_co_u32 v3, s0, s0, v3
	s_delay_alu instid0(VALU_DEP_1)
	v_add_co_ci_u32_e64 v4, null, s1, 0, s0
	v_mov_b32_e32 v7, v0
	s_mov_b32 s28, 0
	s_lshl_b32 s29, s20, 5
.LBB8_37:                               ; =>This Inner Loop Header: Depth=1
	s_clause 0x1
	global_load_b128 v[8:11], v[3:4], off
	global_load_b128 v[12:15], v[3:4], off offset:16
	v_add_co_u32 v3, vcc_lo, v3, s29
	v_add_co_ci_u32_e32 v4, vcc_lo, 0, v4, vcc_lo
	s_waitcnt vmcnt(1)
	v_lshrrev_b32_e32 v16, 16, v8
	v_cvt_f32_f16_e32 v8, v8
	v_add_nc_u32_e32 v7, s20, v7
	v_lshrrev_b32_e32 v17, 16, v9
	v_cvt_f32_f16_e32 v9, v9
	v_lshrrev_b32_e32 v18, 16, v10
	v_mul_f32_e32 v8, v5, v8
	v_cvt_f32_f16_e32 v10, v10
	v_lshrrev_b32_e32 v19, 16, v11
	v_mul_f32_e32 v9, v5, v9
	v_cvt_f32_f16_e32 v11, v11
	v_rndne_f32_e32 v8, v8
	v_cvt_f32_f16_e32 v17, v17
	v_mul_f32_e32 v10, v5, v10
	v_rndne_f32_e32 v9, v9
	v_cvt_f32_f16_e32 v18, v18
	v_cmp_nlt_f32_e64 s0, 0x42fe0000, v8
	v_mul_f32_e32 v11, v5, v11
	v_mul_f32_e32 v17, v5, v17
	v_rndne_f32_e32 v10, v10
	v_cvt_f32_f16_e32 v19, v19
	v_cndmask_b32_e64 v24, 0x42fe0000, v8, s0
	v_cmp_nlt_f32_e64 s0, 0x42fe0000, v9
	v_mul_f32_e32 v18, v5, v18
	v_rndne_f32_e32 v11, v11
	v_cmp_nlt_f32_e64 s1, 0x42fe0000, v10
	v_cmp_ngt_f32_e64 s7, 0xc3000000, v8
	v_cndmask_b32_e64 v25, 0x42fe0000, v9, s0
	v_cmp_ngt_f32_e64 s0, 0xc3000000, v9
	v_rndne_f32_e32 v9, v17
	v_mul_f32_e32 v19, v5, v19
	v_cndmask_b32_e64 v17, 0x42fe0000, v10, s1
	v_cmp_ngt_f32_e64 s1, 0xc3000000, v10
	v_rndne_f32_e32 v10, v18
	v_cmp_nlt_f32_e64 s2, 0x42fe0000, v11
	v_cndmask_b32_e64 v8, 0xc3000000, v24, s7
	v_cndmask_b32_e64 v24, 0xc3000000, v25, s0
	v_cmp_nlt_f32_e64 s0, 0x42fe0000, v9
	s_waitcnt vmcnt(0)
	v_lshrrev_b32_e32 v20, 16, v12
	v_cndmask_b32_e64 v18, 0x42fe0000, v11, s2
	v_cmp_ngt_f32_e64 s2, 0xc3000000, v11
	v_rndne_f32_e32 v11, v19
	v_cndmask_b32_e64 v25, 0x42fe0000, v9, s0
	v_cmp_ngt_f32_e64 s0, 0xc3000000, v9
	v_cndmask_b32_e64 v9, 0xc3000000, v17, s1
	v_cmp_nlt_f32_e64 s1, 0x42fe0000, v10
	v_cvt_f32_f16_e32 v12, v12
	v_lshrrev_b32_e32 v21, 16, v13
	v_cvt_f32_f16_e32 v13, v13
	v_lshrrev_b32_e32 v22, 16, v14
	v_cndmask_b32_e64 v17, 0x42fe0000, v10, s1
	v_cmp_ngt_f32_e64 s1, 0xc3000000, v10
	v_cndmask_b32_e64 v10, 0xc3000000, v18, s2
	v_cmp_nlt_f32_e64 s2, 0x42fe0000, v11
	v_mul_f32_e32 v12, v5, v12
	v_cvt_f32_f16_e32 v14, v14
	v_cndmask_b32_e64 v17, 0xc3000000, v17, s1
	v_cvt_i32_f32_e32 v10, v10
	v_cndmask_b32_e64 v18, 0x42fe0000, v11, s2
	v_cmp_ngt_f32_e64 s2, 0xc3000000, v11
	v_cvt_f32_f16_e32 v20, v20
	s_delay_alu instid0(VALU_DEP_4) | instskip(SKIP_1) | instid1(VALU_DEP_4)
	v_dual_mul_f32 v13, v5, v13 :: v_dual_and_b32 v10, 0xff, v10
	v_rndne_f32_e32 v12, v12
	v_cndmask_b32_e64 v18, 0xc3000000, v18, s2
	v_cvt_i32_f32_e32 v9, v9
	v_cvt_i32_f32_e32 v17, v17
	v_mul_f32_e32 v14, v5, v14
	v_cmp_nlt_f32_e64 s3, 0x42fe0000, v12
	v_cvt_i32_f32_e32 v18, v18
	v_and_b32_e32 v9, 0xff, v9
	v_lshlrev_b16 v17, 8, v17
	v_cvt_f32_f16_e32 v21, v21
	v_cndmask_b32_e64 v19, 0x42fe0000, v12, s3
	v_lshlrev_b16 v18, 8, v18
	v_cmp_ngt_f32_e64 s3, 0xc3000000, v12
	v_or_b32_e32 v9, v9, v17
	v_rndne_f32_e32 v13, v13
	v_cvt_f32_f16_e32 v22, v22
	v_or_b32_e32 v10, v10, v18
	v_mul_f32_e32 v20, v5, v20
	v_cndmask_b32_e64 v11, 0xc3000000, v19, s3
	v_rndne_f32_e32 v14, v14
	v_cmp_nlt_f32_e64 s4, 0x42fe0000, v13
	v_lshlrev_b32_e32 v17, 16, v10
	v_rndne_f32_e32 v12, v20
	v_cvt_i32_f32_e32 v11, v11
	v_mul_f32_e32 v22, v5, v22
	v_cndmask_b32_e64 v20, 0x42fe0000, v13, s4
	v_cmp_ngt_f32_e64 s4, 0xc3000000, v13
	v_cmp_nlt_f32_e64 s3, 0x42fe0000, v12
	v_and_b32_e32 v11, 0xff, v11
	v_cmp_nlt_f32_e64 s5, 0x42fe0000, v14
	v_lshrrev_b32_e32 v23, 16, v15
	v_cvt_f32_f16_e32 v15, v15
	v_cndmask_b32_e64 v19, 0x42fe0000, v12, s3
	v_cmp_ngt_f32_e64 s3, 0xc3000000, v12
	v_cndmask_b32_e64 v12, 0xc3000000, v20, s4
	v_cvt_i32_f32_e32 v8, v8
	v_mul_f32_e32 v15, v5, v15
	v_cvt_f32_f16_e32 v16, v16
	v_cndmask_b32_e64 v19, 0xc3000000, v19, s3
	v_cvt_i32_f32_e32 v12, v12
	v_and_b32_e32 v8, 0xff, v8
	v_cvt_f32_f16_e32 v23, v23
	v_rndne_f32_e32 v15, v15
	v_cvt_i32_f32_e32 v19, v19
	v_and_b32_e32 v12, 0xff, v12
	v_and_b32_e32 v9, 0xffff, v9
	v_cmp_le_i32_e32 vcc_lo, s25, v7
	v_cmp_nlt_f32_e64 s6, 0x42fe0000, v15
	v_lshlrev_b16 v19, 8, v19
	s_delay_alu instid0(VALU_DEP_4) | instskip(SKIP_1) | instid1(VALU_DEP_2)
	v_or_b32_e32 v9, v9, v17
	s_or_b32 s28, vcc_lo, s28
	v_or_b32_e32 v11, v11, v19
	v_mul_f32_e32 v21, v5, v21
	s_delay_alu instid0(VALU_DEP_1)
	v_rndne_f32_e32 v13, v21
	v_cndmask_b32_e64 v21, 0x42fe0000, v14, s5
	v_cmp_ngt_f32_e64 s5, 0xc3000000, v14
	v_rndne_f32_e32 v14, v22
	v_cndmask_b32_e64 v22, 0x42fe0000, v15, s6
	v_cmp_nlt_f32_e64 s4, 0x42fe0000, v13
	v_cmp_ngt_f32_e64 s6, 0xc3000000, v15
	s_delay_alu instid0(VALU_DEP_2) | instskip(SKIP_3) | instid1(VALU_DEP_3)
	v_cndmask_b32_e64 v20, 0x42fe0000, v13, s4
	v_cmp_ngt_f32_e64 s4, 0xc3000000, v13
	v_cndmask_b32_e64 v13, 0xc3000000, v21, s5
	v_cmp_nlt_f32_e64 s5, 0x42fe0000, v14
	v_cndmask_b32_e64 v20, 0xc3000000, v20, s4
	s_delay_alu instid0(VALU_DEP_3) | instskip(NEXT) | instid1(VALU_DEP_3)
	v_cvt_i32_f32_e32 v13, v13
	v_cndmask_b32_e64 v21, 0x42fe0000, v14, s5
	v_cmp_ngt_f32_e64 s5, 0xc3000000, v14
	v_cndmask_b32_e64 v14, 0xc3000000, v22, s6
	v_cvt_i32_f32_e32 v20, v20
	v_and_b32_e32 v13, 0xff, v13
	s_delay_alu instid0(VALU_DEP_4) | instskip(NEXT) | instid1(VALU_DEP_4)
	v_cndmask_b32_e64 v21, 0xc3000000, v21, s5
	v_cvt_i32_f32_e32 v14, v14
	s_delay_alu instid0(VALU_DEP_4) | instskip(NEXT) | instid1(VALU_DEP_3)
	v_lshlrev_b16 v20, 8, v20
	v_cvt_i32_f32_e32 v21, v21
	s_delay_alu instid0(VALU_DEP_3) | instskip(NEXT) | instid1(VALU_DEP_3)
	v_and_b32_e32 v14, 0xff, v14
	v_or_b32_e32 v12, v12, v20
	v_mul_f32_e32 v23, v5, v23
	s_delay_alu instid0(VALU_DEP_4) | instskip(NEXT) | instid1(VALU_DEP_3)
	v_lshlrev_b16 v21, 8, v21
	v_lshlrev_b32_e32 v12, 16, v12
	s_delay_alu instid0(VALU_DEP_3) | instskip(NEXT) | instid1(VALU_DEP_3)
	v_rndne_f32_e32 v15, v23
	v_or_b32_e32 v13, v13, v21
	v_mul_f32_e32 v16, v5, v16
	s_delay_alu instid0(VALU_DEP_3) | instskip(NEXT) | instid1(VALU_DEP_3)
	v_cmp_nlt_f32_e64 s6, 0x42fe0000, v15
	v_and_b32_e32 v13, 0xffff, v13
	s_delay_alu instid0(VALU_DEP_3) | instskip(NEXT) | instid1(VALU_DEP_3)
	v_rndne_f32_e32 v16, v16
	v_cndmask_b32_e64 v22, 0x42fe0000, v15, s6
	v_cmp_ngt_f32_e64 s6, 0xc3000000, v15
	s_delay_alu instid0(VALU_DEP_3) | instskip(NEXT) | instid1(VALU_DEP_2)
	v_cmp_nlt_f32_e64 s7, 0x42fe0000, v16
	v_cndmask_b32_e64 v22, 0xc3000000, v22, s6
	s_delay_alu instid0(VALU_DEP_2) | instskip(SKIP_2) | instid1(VALU_DEP_4)
	v_cndmask_b32_e64 v23, 0x42fe0000, v16, s7
	v_cmp_ngt_f32_e64 s7, 0xc3000000, v16
	v_cvt_i32_f32_e32 v16, v24
	v_cvt_i32_f32_e32 v22, v22
	s_delay_alu instid0(VALU_DEP_3) | instskip(SKIP_1) | instid1(VALU_DEP_4)
	v_cndmask_b32_e64 v15, 0xc3000000, v23, s7
	v_cndmask_b32_e64 v23, 0xc3000000, v25, s0
	v_and_b32_e32 v16, 0xff, v16
	s_delay_alu instid0(VALU_DEP_4) | instskip(NEXT) | instid1(VALU_DEP_4)
	v_lshlrev_b16 v22, 8, v22
	v_cvt_i32_f32_e32 v15, v15
	s_delay_alu instid0(VALU_DEP_4) | instskip(NEXT) | instid1(VALU_DEP_3)
	v_cvt_i32_f32_e32 v23, v23
	v_or_b32_e32 v14, v14, v22
	s_delay_alu instid0(VALU_DEP_3) | instskip(NEXT) | instid1(VALU_DEP_3)
	v_lshlrev_b16 v15, 8, v15
	v_lshlrev_b16 v23, 8, v23
	s_delay_alu instid0(VALU_DEP_3) | instskip(NEXT) | instid1(VALU_DEP_3)
	v_lshlrev_b32_e32 v14, 16, v14
	v_or_b32_e32 v8, v8, v15
	s_delay_alu instid0(VALU_DEP_3) | instskip(SKIP_1) | instid1(VALU_DEP_4)
	v_or_b32_e32 v15, v16, v23
	v_and_b32_e32 v16, 0xffff, v11
	v_or_b32_e32 v11, v13, v14
	s_delay_alu instid0(VALU_DEP_4) | instskip(NEXT) | instid1(VALU_DEP_4)
	v_and_b32_e32 v8, 0xffff, v8
	v_lshlrev_b32_e32 v15, 16, v15
	s_delay_alu instid0(VALU_DEP_4) | instskip(NEXT) | instid1(VALU_DEP_2)
	v_or_b32_e32 v10, v16, v12
	v_or_b32_e32 v8, v8, v15
	global_store_b128 v[1:2], v[8:11], off
	v_add_co_u32 v1, s0, v1, s27
	s_delay_alu instid0(VALU_DEP_1)
	v_add_co_ci_u32_e64 v2, s0, 0, v2, s0
	s_and_not1_b32 exec_lo, exec_lo, s28
	s_cbranch_execnz .LBB8_37
.LBB8_38:
	s_or_b32 exec_lo, exec_lo, s26
	v_lshl_add_u32 v1, s25, 4, v0
	s_mov_b32 s1, exec_lo
	s_delay_alu instid0(VALU_DEP_1)
	v_cmpx_gt_i32_e64 s24, v1
	s_cbranch_execz .LBB8_46
; %bb.39:
	v_rcp_iflag_f32_e32 v2, v6
	s_add_u32 s2, s18, s16
	s_addc_u32 s3, s19, s17
	s_sub_i32 s0, 0, s20
	v_add_nc_u32_e32 v4, s20, v1
	s_cmp_eq_u32 s20, 1
	s_mov_b32 s5, 0
	s_delay_alu instid0(VALU_DEP_1) | instskip(SKIP_3) | instid1(VALU_DEP_2)
	v_cmp_gt_i32_e32 vcc_lo, s24, v4
	s_waitcnt_depctr 0xfff
	v_mul_f32_e32 v2, 0x4f7ffffe, v2
	v_max_i32_e32 v6, s24, v4
	v_cvt_u32_f32_e32 v2, v2
	s_delay_alu instid0(VALU_DEP_1) | instskip(SKIP_1) | instid1(VALU_DEP_1)
	v_mul_lo_u32 v3, s0, v2
	v_add_co_ci_u32_e64 v4, s0, s20, v1, vcc_lo
	v_sub_nc_u32_e32 v4, v6, v4
	s_delay_alu instid0(VALU_DEP_3) | instskip(NEXT) | instid1(VALU_DEP_1)
	v_mul_hi_u32 v3, v2, v3
	v_add_nc_u32_e32 v2, v2, v3
	s_delay_alu instid0(VALU_DEP_1) | instskip(NEXT) | instid1(VALU_DEP_1)
	v_mul_hi_u32 v2, v4, v2
	v_mul_lo_u32 v3, v2, s20
	s_delay_alu instid0(VALU_DEP_1) | instskip(SKIP_1) | instid1(VALU_DEP_2)
	v_sub_nc_u32_e32 v3, v4, v3
	v_add_nc_u32_e32 v4, 1, v2
	v_subrev_nc_u32_e32 v6, s20, v3
	v_cmp_le_u32_e64 s0, s20, v3
	s_delay_alu instid0(VALU_DEP_1) | instskip(NEXT) | instid1(VALU_DEP_3)
	v_cndmask_b32_e64 v2, v2, v4, s0
	v_cndmask_b32_e64 v3, v3, v6, s0
	s_delay_alu instid0(VALU_DEP_2) | instskip(NEXT) | instid1(VALU_DEP_2)
	v_add_nc_u32_e32 v4, 1, v2
	v_cmp_le_u32_e64 s0, s20, v3
	s_delay_alu instid0(VALU_DEP_1) | instskip(SKIP_1) | instid1(VALU_DEP_1)
	v_cndmask_b32_e64 v2, v2, v4, s0
	s_cselect_b32 s0, -1, 0
	v_add_co_ci_u32_e32 v4, vcc_lo, 1, v2, vcc_lo
	s_delay_alu instid0(VALU_DEP_1)
	v_cmp_lt_u32_e32 vcc_lo, 1, v4
	s_and_b32 s6, vcc_lo, s0
	s_mov_b32 s0, -1
	s_and_saveexec_b32 s4, s6
	s_cbranch_execz .LBB8_43
; %bb.40:
	v_and_b32_e32 v6, -2, v4
	s_lshl_b64 s[6:7], s[16:17], 1
	v_mov_b32_e32 v2, v1
	s_add_u32 s6, s22, s6
	s_addc_u32 s7, s23, s7
	v_mov_b32_e32 v7, v6
.LBB8_41:                               ; =>This Inner Loop Header: Depth=1
	s_delay_alu instid0(VALU_DEP_2) | instskip(NEXT) | instid1(VALU_DEP_2)
	v_ashrrev_i32_e32 v3, 31, v2
	v_add_nc_u32_e32 v7, -2, v7
	s_delay_alu instid0(VALU_DEP_2) | instskip(NEXT) | instid1(VALU_DEP_1)
	v_lshlrev_b64 v[8:9], 1, v[2:3]
	v_add_co_u32 v8, vcc_lo, s6, v8
	s_delay_alu instid0(VALU_DEP_2) | instskip(SKIP_4) | instid1(VALU_DEP_2)
	v_add_co_ci_u32_e32 v9, vcc_lo, s7, v9, vcc_lo
	global_load_b32 v8, v[8:9], off
	s_waitcnt vmcnt(0)
	v_lshrrev_b32_e32 v9, 16, v8
	v_cvt_f32_f16_e32 v8, v8
	v_cvt_f32_f16_e32 v9, v9
	s_delay_alu instid0(VALU_DEP_1) | instskip(NEXT) | instid1(VALU_DEP_1)
	v_mul_f32_e32 v9, v5, v9
	v_rndne_f32_e32 v9, v9
	s_delay_alu instid0(VALU_DEP_4) | instskip(NEXT) | instid1(VALU_DEP_1)
	v_mul_f32_e32 v8, v5, v8
	v_rndne_f32_e32 v8, v8
	s_delay_alu instid0(VALU_DEP_1) | instskip(SKIP_4) | instid1(VALU_DEP_4)
	v_cmp_nlt_f32_e32 vcc_lo, 0x42fe0000, v8
	v_cndmask_b32_e32 v10, 0x42fe0000, v8, vcc_lo
	v_cmp_nlt_f32_e32 vcc_lo, 0x42fe0000, v9
	v_cndmask_b32_e32 v11, 0x42fe0000, v9, vcc_lo
	v_cmp_ngt_f32_e32 vcc_lo, 0xc3000000, v8
	v_cndmask_b32_e32 v8, 0xc3000000, v10, vcc_lo
	v_cmp_ngt_f32_e32 vcc_lo, 0xc3000000, v9
	s_delay_alu instid0(VALU_DEP_2) | instskip(SKIP_2) | instid1(VALU_DEP_3)
	v_cvt_i32_f32_e32 v8, v8
	v_cndmask_b32_e32 v9, 0xc3000000, v11, vcc_lo
	v_cmp_eq_u32_e32 vcc_lo, 0, v7
	v_and_b32_e32 v10, 0xff, v8
	v_add_co_u32 v8, s0, s2, v2
	v_add_nc_u32_e32 v2, 2, v2
	v_cvt_i32_f32_e32 v9, v9
	s_or_b32 s5, vcc_lo, s5
	s_delay_alu instid0(VALU_DEP_1) | instskip(SKIP_1) | instid1(VALU_DEP_2)
	v_lshlrev_b16 v11, 8, v9
	v_add_co_ci_u32_e64 v9, s0, s3, v3, s0
	v_or_b32_e32 v3, v10, v11
	global_store_b16 v[8:9], v3, off
	s_and_not1_b32 exec_lo, exec_lo, s5
	s_cbranch_execnz .LBB8_41
; %bb.42:
	s_or_b32 exec_lo, exec_lo, s5
	v_cmp_ne_u32_e32 vcc_lo, v4, v6
	v_add_nc_u32_e32 v1, v1, v6
	s_or_not1_b32 s0, vcc_lo, exec_lo
.LBB8_43:
	s_or_b32 exec_lo, exec_lo, s4
	s_delay_alu instid0(SALU_CYCLE_1)
	s_and_b32 exec_lo, exec_lo, s0
	s_cbranch_execz .LBB8_46
; %bb.44:
	v_ashrrev_i32_e32 v2, 31, v1
	s_lshl_b64 s[4:5], s[16:17], 1
	s_delay_alu instid0(SALU_CYCLE_1) | instskip(SKIP_1) | instid1(VALU_DEP_1)
	s_add_u32 s0, s10, s4
	s_addc_u32 s4, s11, s5
	v_lshlrev_b64 v[3:4], 1, v[1:2]
	s_add_u32 s0, s8, s0
	s_addc_u32 s4, s9, s4
	s_lshl_b32 s5, s20, 1
	s_delay_alu instid0(VALU_DEP_1) | instskip(NEXT) | instid1(VALU_DEP_2)
	v_add_co_u32 v3, vcc_lo, s0, v3
	v_add_co_ci_u32_e32 v4, vcc_lo, s4, v4, vcc_lo
	s_mov_b32 s4, 0
	.p2align	6
.LBB8_45:                               ; =>This Inner Loop Header: Depth=1
	global_load_u16 v6, v[3:4], off
	s_waitcnt vmcnt(0)
	v_cvt_f32_f16_e32 v7, v6
	v_add_co_u32 v6, vcc_lo, s2, v1
	s_delay_alu instid0(VALU_DEP_2) | instskip(SKIP_2) | instid1(VALU_DEP_3)
	v_mul_f32_e32 v8, v5, v7
	v_add_co_ci_u32_e32 v7, vcc_lo, s3, v2, vcc_lo
	v_add_co_u32 v1, vcc_lo, v1, s20
	v_rndne_f32_e32 v8, v8
	v_add_co_ci_u32_e32 v2, vcc_lo, 0, v2, vcc_lo
	s_delay_alu instid0(VALU_DEP_2) | instskip(SKIP_1) | instid1(VALU_DEP_2)
	v_cmp_nlt_f32_e64 s0, 0x42fe0000, v8
	v_cmp_ngt_f32_e32 vcc_lo, 0xc3000000, v8
	v_cndmask_b32_e64 v9, 0x42fe0000, v8, s0
	v_cmp_le_i32_e64 s0, s24, v1
	s_delay_alu instid0(VALU_DEP_2) | instskip(SKIP_2) | instid1(VALU_DEP_3)
	v_cndmask_b32_e32 v8, 0xc3000000, v9, vcc_lo
	v_add_co_u32 v3, vcc_lo, v3, s5
	v_add_co_ci_u32_e32 v4, vcc_lo, 0, v4, vcc_lo
	v_cvt_i32_f32_e32 v8, v8
	s_or_b32 s4, s0, s4
	global_store_b8 v[6:7], v8, off
	s_and_not1_b32 exec_lo, exec_lo, s4
	s_cbranch_execnz .LBB8_45
.LBB8_46:
	s_or_b32 exec_lo, exec_lo, s1
	s_mov_b32 s0, 0
.LBB8_47:
	s_delay_alu instid0(SALU_CYCLE_1)
	s_and_b32 vcc_lo, exec_lo, s0
	s_cbranch_vccz .LBB8_51
; %bb.48:
	s_ashr_i32 s16, s21, 4
	s_mov_b32 s0, exec_lo
	v_cmpx_gt_i32_e64 s16, v0
	s_cbranch_execz .LBB8_51
; %bb.49:
	v_lshlrev_b32_e32 v1, 4, v0
	s_add_u32 s0, s14, s12
	v_lshlrev_b32_e32 v3, 5, v0
	s_addc_u32 s1, s15, s13
	s_lshl_b32 s12, s20, 4
	v_add_co_u32 v1, s0, s0, v1
	s_delay_alu instid0(VALU_DEP_1) | instskip(SKIP_3) | instid1(VALU_DEP_1)
	v_add_co_ci_u32_e64 v2, null, s1, 0, s0
	s_add_u32 s0, s8, s10
	s_addc_u32 s1, s9, s11
	v_add_co_u32 v3, s0, s0, v3
	v_add_co_ci_u32_e64 v4, null, s1, 0, s0
	s_mov_b32 s8, 0
	s_lshl_b32 s9, s20, 5
.LBB8_50:                               ; =>This Inner Loop Header: Depth=1
	s_clause 0x1
	global_load_b128 v[6:9], v[3:4], off
	global_load_b128 v[10:13], v[3:4], off offset:16
	v_add_co_u32 v3, vcc_lo, v3, s9
	v_add_co_ci_u32_e32 v4, vcc_lo, 0, v4, vcc_lo
	s_waitcnt vmcnt(1)
	v_lshrrev_b32_e32 v14, 16, v6
	v_cvt_f32_f16_e32 v6, v6
	v_lshrrev_b32_e32 v15, 16, v7
	v_cvt_f32_f16_e32 v7, v7
	v_add_nc_u32_e32 v0, s20, v0
	v_lshrrev_b32_e32 v16, 16, v8
	v_mul_f32_e32 v6, v5, v6
	v_cvt_f32_f16_e32 v8, v8
	v_mul_f32_e32 v7, v5, v7
	v_lshrrev_b32_e32 v17, 16, v9
	v_cvt_f32_f16_e32 v9, v9
	v_rndne_f32_e32 v6, v6
	v_cvt_f32_f16_e32 v15, v15
	v_mul_f32_e32 v8, v5, v8
	v_rndne_f32_e32 v7, v7
	v_cvt_f32_f16_e32 v16, v16
	v_cmp_nlt_f32_e64 s0, 0x42fe0000, v6
	v_cmp_ngt_f32_e64 s7, 0xc3000000, v6
	v_mul_f32_e32 v9, v5, v9
	v_rndne_f32_e32 v8, v8
	v_cvt_f32_f16_e32 v17, v17
	v_cndmask_b32_e64 v22, 0x42fe0000, v6, s0
	v_cmp_nlt_f32_e64 s0, 0x42fe0000, v7
	v_mul_f32_e32 v16, v5, v16
	v_rndne_f32_e32 v9, v9
	v_cmp_nlt_f32_e64 s1, 0x42fe0000, v8
	v_cndmask_b32_e64 v6, 0xc3000000, v22, s7
	v_cndmask_b32_e64 v23, 0x42fe0000, v7, s0
	v_cmp_ngt_f32_e64 s0, 0xc3000000, v7
	v_mul_f32_e32 v17, v5, v17
	v_cmp_nlt_f32_e64 s2, 0x42fe0000, v9
	v_cvt_i32_f32_e32 v6, v6
	v_mul_f32_e32 v15, v5, v15
	v_cndmask_b32_e64 v22, 0xc3000000, v23, s0
	s_waitcnt vmcnt(0)
	v_lshrrev_b32_e32 v18, 16, v10
	v_cvt_f32_f16_e32 v10, v10
	v_and_b32_e32 v6, 0xff, v6
	v_rndne_f32_e32 v7, v15
	v_cndmask_b32_e64 v15, 0x42fe0000, v8, s1
	v_cmp_ngt_f32_e64 s1, 0xc3000000, v8
	v_rndne_f32_e32 v8, v16
	v_cndmask_b32_e64 v16, 0x42fe0000, v9, s2
	v_cmp_nlt_f32_e64 s0, 0x42fe0000, v7
	v_cmp_ngt_f32_e64 s2, 0xc3000000, v9
	v_rndne_f32_e32 v9, v17
	v_lshrrev_b32_e32 v19, 16, v11
	v_lshrrev_b32_e32 v21, 16, v13
	v_cndmask_b32_e64 v23, 0x42fe0000, v7, s0
	v_cmp_ngt_f32_e64 s0, 0xc3000000, v7
	v_cndmask_b32_e64 v7, 0xc3000000, v15, s1
	v_cmp_nlt_f32_e64 s1, 0x42fe0000, v8
	v_cvt_f32_f16_e32 v11, v11
	v_cvt_f32_f16_e32 v13, v13
	;; [unrolled: 1-line block ×3, first 2 shown]
	v_cvt_i32_f32_e32 v7, v7
	v_cndmask_b32_e64 v15, 0x42fe0000, v8, s1
	v_cmp_ngt_f32_e64 s1, 0xc3000000, v8
	v_cndmask_b32_e64 v8, 0xc3000000, v16, s2
	v_cmp_nlt_f32_e64 s2, 0x42fe0000, v9
	v_dual_mul_f32 v10, v5, v10 :: v_dual_and_b32 v7, 0xff, v7
	s_delay_alu instid0(VALU_DEP_4) | instskip(NEXT) | instid1(VALU_DEP_4)
	v_cndmask_b32_e64 v15, 0xc3000000, v15, s1
	v_cvt_i32_f32_e32 v8, v8
	s_delay_alu instid0(VALU_DEP_4) | instskip(SKIP_2) | instid1(VALU_DEP_4)
	v_cndmask_b32_e64 v16, 0x42fe0000, v9, s2
	v_cmp_ngt_f32_e64 s2, 0xc3000000, v9
	v_mul_f32_e32 v11, v5, v11
	v_dual_mul_f32 v13, v5, v13 :: v_dual_and_b32 v8, 0xff, v8
	v_rndne_f32_e32 v10, v10
	s_delay_alu instid0(VALU_DEP_4)
	v_cndmask_b32_e64 v16, 0xc3000000, v16, s2
	v_cvt_i32_f32_e32 v15, v15
	v_cvt_f32_f16_e32 v19, v19
	v_rndne_f32_e32 v11, v11
	v_cmp_nlt_f32_e64 s3, 0x42fe0000, v10
	v_cvt_i32_f32_e32 v16, v16
	v_lshlrev_b16 v15, 8, v15
	v_mul_f32_e32 v19, v5, v19
	v_cmp_nlt_f32_e64 s4, 0x42fe0000, v11
	v_cndmask_b32_e64 v17, 0x42fe0000, v10, s3
	v_lshlrev_b16 v16, 8, v16
	v_cmp_ngt_f32_e64 s3, 0xc3000000, v10
	v_or_b32_e32 v7, v7, v15
	v_lshrrev_b32_e32 v20, 16, v12
	v_cvt_f32_f16_e32 v12, v12
	v_or_b32_e32 v8, v8, v16
	v_mul_f32_e32 v18, v5, v18
	v_cndmask_b32_e64 v9, 0xc3000000, v17, s3
	v_cvt_f32_f16_e32 v20, v20
	v_mul_f32_e32 v12, v5, v12
	v_lshlrev_b32_e32 v15, 16, v8
	v_rndne_f32_e32 v10, v18
	v_cndmask_b32_e64 v18, 0x42fe0000, v11, s4
	v_cmp_ngt_f32_e64 s4, 0xc3000000, v11
	v_rndne_f32_e32 v11, v19
	v_rndne_f32_e32 v12, v12
	v_cmp_nlt_f32_e64 s3, 0x42fe0000, v10
	v_cvt_f32_f16_e32 v14, v14
	v_cvt_f32_f16_e32 v21, v21
	v_mul_f32_e32 v20, v5, v20
	v_rndne_f32_e32 v13, v13
	v_cndmask_b32_e64 v17, 0x42fe0000, v10, s3
	v_cmp_ngt_f32_e64 s3, 0xc3000000, v10
	v_cndmask_b32_e64 v10, 0xc3000000, v18, s4
	v_cmp_nlt_f32_e64 s4, 0x42fe0000, v11
	v_cmp_nlt_f32_e64 s5, 0x42fe0000, v12
	v_dual_mul_f32 v14, v5, v14 :: v_dual_and_b32 v7, 0xffff, v7
	s_delay_alu instid0(VALU_DEP_4) | instskip(NEXT) | instid1(VALU_DEP_4)
	v_cvt_i32_f32_e32 v10, v10
	v_cndmask_b32_e64 v18, 0x42fe0000, v11, s4
	v_cmp_ngt_f32_e64 s4, 0xc3000000, v11
	v_cndmask_b32_e64 v19, 0x42fe0000, v12, s5
	v_cmp_ngt_f32_e64 s5, 0xc3000000, v12
	v_and_b32_e32 v10, 0xff, v10
	v_rndne_f32_e32 v12, v20
	v_cndmask_b32_e64 v18, 0xc3000000, v18, s4
	v_cmp_nlt_f32_e64 s6, 0x42fe0000, v13
	v_rndne_f32_e32 v14, v14
	v_cndmask_b32_e64 v11, 0xc3000000, v19, s5
	v_cmp_nlt_f32_e64 s5, 0x42fe0000, v12
	v_cvt_i32_f32_e32 v18, v18
	v_cndmask_b32_e64 v20, 0x42fe0000, v13, s6
	v_cmp_ngt_f32_e64 s6, 0xc3000000, v13
	v_cmp_nlt_f32_e64 s7, 0x42fe0000, v14
	v_cndmask_b32_e64 v19, 0x42fe0000, v12, s5
	v_lshlrev_b16 v18, 8, v18
	v_cmp_ngt_f32_e64 s5, 0xc3000000, v12
	v_cndmask_b32_e64 v12, 0xc3000000, v20, s6
	v_cndmask_b32_e64 v17, 0xc3000000, v17, s3
	v_cvt_i32_f32_e32 v9, v9
	v_or_b32_e32 v10, v10, v18
	v_mul_f32_e32 v21, v5, v21
	v_cndmask_b32_e64 v19, 0xc3000000, v19, s5
	v_cvt_i32_f32_e32 v11, v11
	v_cvt_i32_f32_e32 v12, v12
	v_lshlrev_b32_e32 v10, 16, v10
	v_rndne_f32_e32 v13, v21
	v_cndmask_b32_e64 v21, 0x42fe0000, v14, s7
	v_cmp_ngt_f32_e64 s7, 0xc3000000, v14
	v_cvt_i32_f32_e32 v14, v22
	v_cvt_i32_f32_e32 v17, v17
	v_cmp_nlt_f32_e64 s6, 0x42fe0000, v13
	v_cvt_i32_f32_e32 v19, v19
	v_and_b32_e32 v11, 0xff, v11
	v_and_b32_e32 v12, 0xff, v12
	;; [unrolled: 1-line block ×3, first 2 shown]
	v_cndmask_b32_e64 v20, 0x42fe0000, v13, s6
	v_cmp_ngt_f32_e64 s6, 0xc3000000, v13
	v_cndmask_b32_e64 v13, 0xc3000000, v21, s7
	v_cndmask_b32_e64 v21, 0xc3000000, v23, s0
	v_and_b32_e32 v14, 0xff, v14
	v_lshlrev_b16 v19, 8, v19
	v_cndmask_b32_e64 v20, 0xc3000000, v20, s6
	v_cvt_i32_f32_e32 v13, v13
	v_cvt_i32_f32_e32 v21, v21
	v_lshlrev_b16 v17, 8, v17
	v_or_b32_e32 v11, v11, v19
	v_cvt_i32_f32_e32 v20, v20
	v_lshlrev_b16 v13, 8, v13
	v_lshlrev_b16 v21, 8, v21
	v_or_b32_e32 v9, v9, v17
	v_and_b32_e32 v11, 0xffff, v11
	v_lshlrev_b16 v20, 8, v20
	v_or_b32_e32 v6, v6, v13
	v_or_b32_e32 v13, v14, v21
	v_and_b32_e32 v14, 0xffff, v9
	v_or_b32_e32 v7, v7, v15
	v_or_b32_e32 v12, v12, v20
	v_and_b32_e32 v6, 0xffff, v6
	v_lshlrev_b32_e32 v13, 16, v13
	v_or_b32_e32 v8, v14, v10
	v_cmp_le_i32_e32 vcc_lo, s16, v0
	v_lshlrev_b32_e32 v12, 16, v12
	s_delay_alu instid0(VALU_DEP_4) | instskip(SKIP_1) | instid1(VALU_DEP_2)
	v_or_b32_e32 v6, v6, v13
	s_or_b32 s8, vcc_lo, s8
	v_or_b32_e32 v9, v11, v12
	global_store_b128 v[1:2], v[6:9], off
	v_add_co_u32 v1, s0, v1, s12
	s_delay_alu instid0(VALU_DEP_1)
	v_add_co_ci_u32_e64 v2, s0, 0, v2, s0
	s_and_not1_b32 exec_lo, exec_lo, s8
	s_cbranch_execnz .LBB8_50
.LBB8_51:
	s_nop 0
	s_sendmsg sendmsg(MSG_DEALLOC_VGPRS)
	s_endpgm
	.section	.rodata,"a",@progbits
	.p2align	6, 0x0
	.amdhsa_kernel _ZN4vllm32dynamic_scaled_int8_quant_kernelIN3c104HalfEfEEvPKT_PaPT0_i
		.amdhsa_group_segment_fixed_size 36
		.amdhsa_private_segment_fixed_size 0
		.amdhsa_kernarg_size 288
		.amdhsa_user_sgpr_count 15
		.amdhsa_user_sgpr_dispatch_ptr 0
		.amdhsa_user_sgpr_queue_ptr 0
		.amdhsa_user_sgpr_kernarg_segment_ptr 1
		.amdhsa_user_sgpr_dispatch_id 0
		.amdhsa_user_sgpr_private_segment_size 0
		.amdhsa_wavefront_size32 1
		.amdhsa_uses_dynamic_stack 0
		.amdhsa_enable_private_segment 0
		.amdhsa_system_sgpr_workgroup_id_x 1
		.amdhsa_system_sgpr_workgroup_id_y 0
		.amdhsa_system_sgpr_workgroup_id_z 0
		.amdhsa_system_sgpr_workgroup_info 0
		.amdhsa_system_vgpr_workitem_id 0
		.amdhsa_next_free_vgpr 26
		.amdhsa_next_free_sgpr 30
		.amdhsa_reserve_vcc 1
		.amdhsa_float_round_mode_32 0
		.amdhsa_float_round_mode_16_64 0
		.amdhsa_float_denorm_mode_32 3
		.amdhsa_float_denorm_mode_16_64 3
		.amdhsa_dx10_clamp 1
		.amdhsa_ieee_mode 1
		.amdhsa_fp16_overflow 0
		.amdhsa_workgroup_processor_mode 1
		.amdhsa_memory_ordered 1
		.amdhsa_forward_progress 0
		.amdhsa_shared_vgpr_count 0
		.amdhsa_exception_fp_ieee_invalid_op 0
		.amdhsa_exception_fp_denorm_src 0
		.amdhsa_exception_fp_ieee_div_zero 0
		.amdhsa_exception_fp_ieee_overflow 0
		.amdhsa_exception_fp_ieee_underflow 0
		.amdhsa_exception_fp_ieee_inexact 0
		.amdhsa_exception_int_div_zero 0
	.end_amdhsa_kernel
	.section	.text._ZN4vllm32dynamic_scaled_int8_quant_kernelIN3c104HalfEfEEvPKT_PaPT0_i,"axG",@progbits,_ZN4vllm32dynamic_scaled_int8_quant_kernelIN3c104HalfEfEEvPKT_PaPT0_i,comdat
.Lfunc_end8:
	.size	_ZN4vllm32dynamic_scaled_int8_quant_kernelIN3c104HalfEfEEvPKT_PaPT0_i, .Lfunc_end8-_ZN4vllm32dynamic_scaled_int8_quant_kernelIN3c104HalfEfEEvPKT_PaPT0_i
                                        ; -- End function
	.section	.AMDGPU.csdata,"",@progbits
; Kernel info:
; codeLenInByte = 6992
; NumSgprs: 32
; NumVgprs: 26
; ScratchSize: 0
; MemoryBound: 0
; FloatMode: 240
; IeeeMode: 1
; LDSByteSize: 36 bytes/workgroup (compile time only)
; SGPRBlocks: 3
; VGPRBlocks: 3
; NumSGPRsForWavesPerEU: 32
; NumVGPRsForWavesPerEU: 26
; Occupancy: 16
; WaveLimiterHint : 0
; COMPUTE_PGM_RSRC2:SCRATCH_EN: 0
; COMPUTE_PGM_RSRC2:USER_SGPR: 15
; COMPUTE_PGM_RSRC2:TRAP_HANDLER: 0
; COMPUTE_PGM_RSRC2:TGID_X_EN: 1
; COMPUTE_PGM_RSRC2:TGID_Y_EN: 0
; COMPUTE_PGM_RSRC2:TGID_Z_EN: 0
; COMPUTE_PGM_RSRC2:TIDIG_COMP_CNT: 0
	.section	.text._ZN4vllm36dynamic_scaled_int8_azp_quant_kernelIN3c104HalfEfiEEvPKT_PaPT0_PT1_i,"axG",@progbits,_ZN4vllm36dynamic_scaled_int8_azp_quant_kernelIN3c104HalfEfiEEvPKT_PaPT0_PT1_i,comdat
	.protected	_ZN4vllm36dynamic_scaled_int8_azp_quant_kernelIN3c104HalfEfiEEvPKT_PaPT0_PT1_i ; -- Begin function _ZN4vllm36dynamic_scaled_int8_azp_quant_kernelIN3c104HalfEfiEEvPKT_PaPT0_PT1_i
	.globl	_ZN4vllm36dynamic_scaled_int8_azp_quant_kernelIN3c104HalfEfiEEvPKT_PaPT0_PT1_i
	.p2align	8
	.type	_ZN4vllm36dynamic_scaled_int8_azp_quant_kernelIN3c104HalfEfiEEvPKT_PaPT0_PT1_i,@function
_ZN4vllm36dynamic_scaled_int8_azp_quant_kernelIN3c104HalfEfiEEvPKT_PaPT0_PT1_i: ; @_ZN4vllm36dynamic_scaled_int8_azp_quant_kernelIN3c104HalfEfiEEvPKT_PaPT0_PT1_i
; %bb.0:
	s_clause 0x2
	s_load_b32 s33, s[0:1], 0x20
	s_load_b32 s2, s[0:1], 0x34
	s_load_b64 s[16:17], s[0:1], 0x0
	s_mov_b32 s4, s15
	s_mov_b32 s5, 0
	s_waitcnt lgkmcnt(0)
	s_ashr_i32 s3, s33, 31
	s_mul_hi_u32 s6, s33, s15
	s_mul_i32 s3, s3, s15
	s_mul_i32 s18, s33, s15
	s_add_i32 s19, s6, s3
	s_and_b32 s15, s2, 0xffff
	s_lshl_b64 s[20:21], s[18:19], 1
	s_mov_b32 s3, s5
	s_add_u32 s30, s16, s20
	s_addc_u32 s31, s17, s21
	s_and_b32 s2, s30, 31
	s_delay_alu instid0(SALU_CYCLE_1) | instskip(SKIP_2) | instid1(SALU_CYCLE_1)
	s_cmp_lg_u64 s[2:3], 0
	s_cselect_b32 s2, -1, 0
	s_and_b32 s3, s33, 15
	s_cmp_lg_u32 s3, 0
	s_cselect_b32 s3, -1, 0
	s_delay_alu instid0(SALU_CYCLE_1) | instskip(NEXT) | instid1(SALU_CYCLE_1)
	s_or_b32 s3, s3, s2
	s_and_b32 vcc_lo, exec_lo, s3
	s_cbranch_vccz .LBB9_14
; %bb.1:
	s_sub_i32 s2, 0, s30
	v_mov_b32_e32 v1, 0x7f7fffff
	v_mov_b32_e32 v2, 0xff7fffff
	s_bfe_u32 s2, s2, 0x40001
	s_mov_b32 s7, exec_lo
	s_min_i32 s6, s2, s33
	s_delay_alu instid0(SALU_CYCLE_1)
	v_cmpx_gt_i32_e64 s6, v0
	s_cbranch_execz .LBB9_5
; %bb.2:
	v_dual_mov_b32 v2, 0xff7fffff :: v_dual_lshlrev_b32 v1, 1, v0
	s_add_u32 s2, s16, s20
	s_addc_u32 s8, s17, s21
	v_mov_b32_e32 v5, v0
	s_delay_alu instid0(VALU_DEP_2) | instskip(NEXT) | instid1(VALU_DEP_1)
	v_add_co_u32 v3, s2, s2, v1
	v_add_co_ci_u32_e64 v4, null, s8, 0, s2
	v_mov_b32_e32 v1, 0x7f7fffff
	s_mov_b32 s8, 0
	s_lshl_b32 s9, s15, 1
.LBB9_3:                                ; =>This Inner Loop Header: Depth=1
	global_load_u16 v6, v[3:4], off
	v_dual_max_f32 v1, v1, v1 :: v_dual_max_f32 v2, v2, v2
	v_add_co_u32 v3, vcc_lo, v3, s9
	v_add_co_ci_u32_e32 v4, vcc_lo, 0, v4, vcc_lo
	s_waitcnt vmcnt(0)
	v_cvt_f32_f16_e32 v6, v6
	s_delay_alu instid0(VALU_DEP_1) | instskip(NEXT) | instid1(VALU_DEP_1)
	v_dual_max_f32 v2, v2, v6 :: v_dual_add_nc_u32 v5, s15, v5
	v_cmp_le_i32_e64 s2, s6, v5
	v_min_f32_e32 v1, v1, v6
	s_delay_alu instid0(VALU_DEP_2) | instskip(NEXT) | instid1(SALU_CYCLE_1)
	s_or_b32 s8, s2, s8
	s_and_not1_b32 exec_lo, exec_lo, s8
	s_cbranch_execnz .LBB9_3
; %bb.4:
	s_or_b32 exec_lo, exec_lo, s8
.LBB9_5:
	s_delay_alu instid0(SALU_CYCLE_1)
	s_or_b32 exec_lo, exec_lo, s7
	s_sub_i32 s8, s33, s6
	s_ashr_i32 s7, s6, 31
	s_ashr_i32 s2, s8, 31
	s_mov_b32 s10, exec_lo
	s_lshr_b32 s2, s2, 28
	s_delay_alu instid0(SALU_CYCLE_1) | instskip(NEXT) | instid1(SALU_CYCLE_1)
	s_add_i32 s2, s8, s2
	s_ashr_i32 s9, s2, 4
	s_delay_alu instid0(SALU_CYCLE_1)
	v_cmpx_gt_i32_e64 s9, v0
	s_cbranch_execz .LBB9_9
; %bb.6:
	s_lshl_b64 s[12:13], s[6:7], 1
	v_lshlrev_b32_e32 v3, 5, v0
	s_add_u32 s2, s16, s12
	s_addc_u32 s11, s17, s13
	s_add_u32 s2, s2, s20
	s_addc_u32 s11, s11, s21
	v_add_co_u32 v3, s2, s2, v3
	s_delay_alu instid0(VALU_DEP_1)
	v_add_co_ci_u32_e64 v4, null, s11, 0, s2
	v_mov_b32_e32 v5, v0
	s_mov_b32 s11, 0
	s_lshl_b32 s12, s15, 5
.LBB9_7:                                ; =>This Inner Loop Header: Depth=1
	s_clause 0x1
	global_load_b128 v[6:9], v[3:4], off
	global_load_b128 v[10:13], v[3:4], off offset:16
	v_add_nc_u32_e32 v5, s15, v5
	v_add_co_u32 v3, vcc_lo, v3, s12
	v_add_co_ci_u32_e32 v4, vcc_lo, 0, v4, vcc_lo
	s_delay_alu instid0(VALU_DEP_3) | instskip(NEXT) | instid1(VALU_DEP_1)
	v_cmp_le_i32_e64 s2, s9, v5
	s_or_b32 s11, s2, s11
	s_waitcnt vmcnt(1)
	v_lshrrev_b32_e32 v14, 16, v6
	v_lshrrev_b32_e32 v15, 16, v7
	v_cvt_f32_f16_e32 v6, v6
	v_lshrrev_b32_e32 v16, 16, v8
	v_cvt_f32_f16_e32 v7, v7
	v_cvt_f32_f16_e32 v14, v14
	;; [unrolled: 1-line block ×3, first 2 shown]
	v_lshrrev_b32_e32 v17, 16, v9
	v_cvt_f32_f16_e32 v8, v8
	v_cvt_f32_f16_e32 v9, v9
	v_min3_f32 v1, v1, v6, v14
	v_max3_f32 v2, v2, v6, v14
	v_cvt_f32_f16_e32 v14, v16
	s_waitcnt vmcnt(0)
	v_lshrrev_b32_e32 v18, 16, v10
	v_lshrrev_b32_e32 v19, 16, v11
	v_min3_f32 v1, v1, v7, v15
	v_max3_f32 v2, v2, v7, v15
	v_cvt_f32_f16_e32 v15, v17
	v_lshrrev_b32_e32 v6, 16, v12
	v_lshrrev_b32_e32 v7, 16, v13
	v_min3_f32 v1, v1, v8, v14
	v_max3_f32 v2, v2, v8, v14
	v_cvt_f32_f16_e32 v8, v10
	v_cvt_f32_f16_e32 v10, v18
	;; [unrolled: 1-line block ×3, first 2 shown]
	v_min3_f32 v1, v1, v9, v15
	v_max3_f32 v2, v2, v9, v15
	v_cvt_f32_f16_e32 v9, v11
	v_cvt_f32_f16_e32 v11, v19
	;; [unrolled: 1-line block ×3, first 2 shown]
	v_min3_f32 v1, v1, v8, v10
	v_max3_f32 v2, v2, v8, v10
	v_cvt_f32_f16_e32 v8, v12
	s_delay_alu instid0(VALU_DEP_3) | instskip(NEXT) | instid1(VALU_DEP_3)
	v_min3_f32 v1, v1, v9, v11
	v_max3_f32 v2, v2, v9, v11
	v_cvt_f32_f16_e32 v9, v13
	s_delay_alu instid0(VALU_DEP_3) | instskip(NEXT) | instid1(VALU_DEP_3)
	v_min3_f32 v1, v1, v8, v6
	v_max3_f32 v2, v2, v8, v6
	s_delay_alu instid0(VALU_DEP_2) | instskip(NEXT) | instid1(VALU_DEP_2)
	v_min3_f32 v1, v1, v9, v7
	v_max3_f32 v2, v2, v9, v7
	s_and_not1_b32 exec_lo, exec_lo, s11
	s_cbranch_execnz .LBB9_7
; %bb.8:
	s_or_b32 exec_lo, exec_lo, s11
.LBB9_9:
	s_delay_alu instid0(SALU_CYCLE_1) | instskip(SKIP_2) | instid1(VALU_DEP_1)
	s_or_b32 exec_lo, exec_lo, s10
	v_lshl_add_u32 v3, s9, 4, v0
	s_mov_b32 s9, exec_lo
	v_cmpx_gt_i32_e64 s8, v3
	s_cbranch_execz .LBB9_13
; %bb.10:
	v_ashrrev_i32_e32 v4, 31, v3
	s_lshl_b64 s[6:7], s[6:7], 1
	s_delay_alu instid0(SALU_CYCLE_1) | instskip(SKIP_1) | instid1(VALU_DEP_1)
	s_add_u32 s2, s20, s6
	s_addc_u32 s6, s21, s7
	v_lshlrev_b64 v[4:5], 1, v[3:4]
	s_add_u32 s2, s16, s2
	s_addc_u32 s6, s17, s6
	s_lshl_b32 s7, s15, 1
	s_delay_alu instid0(VALU_DEP_1) | instskip(NEXT) | instid1(VALU_DEP_2)
	v_add_co_u32 v4, vcc_lo, s2, v4
	v_add_co_ci_u32_e32 v5, vcc_lo, s6, v5, vcc_lo
	s_mov_b32 s6, 0
.LBB9_11:                               ; =>This Inner Loop Header: Depth=1
	global_load_u16 v6, v[4:5], off
	v_dual_max_f32 v1, v1, v1 :: v_dual_max_f32 v2, v2, v2
	v_add_co_u32 v4, vcc_lo, v4, s7
	v_add_co_ci_u32_e32 v5, vcc_lo, 0, v5, vcc_lo
	s_waitcnt vmcnt(0)
	v_cvt_f32_f16_e32 v6, v6
	s_delay_alu instid0(VALU_DEP_1) | instskip(NEXT) | instid1(VALU_DEP_1)
	v_dual_max_f32 v2, v2, v6 :: v_dual_add_nc_u32 v3, s15, v3
	v_cmp_le_i32_e64 s2, s8, v3
	v_min_f32_e32 v1, v1, v6
	s_delay_alu instid0(VALU_DEP_2) | instskip(NEXT) | instid1(SALU_CYCLE_1)
	s_or_b32 s6, s2, s6
	s_and_not1_b32 exec_lo, exec_lo, s6
	s_cbranch_execnz .LBB9_11
; %bb.12:
	s_or_b32 exec_lo, exec_lo, s6
.LBB9_13:
	s_delay_alu instid0(SALU_CYCLE_1)
	s_or_b32 exec_lo, exec_lo, s9
	s_branch .LBB9_20
.LBB9_14:
                                        ; implicit-def: $vgpr1
	s_cbranch_execz .LBB9_20
; %bb.15:
	v_mov_b32_e32 v1, 0x7f7fffff
	v_mov_b32_e32 v2, 0xff7fffff
	s_ashr_i32 s6, s33, 4
	s_mov_b32 s7, exec_lo
	v_cmpx_gt_i32_e64 s6, v0
	s_cbranch_execz .LBB9_19
; %bb.16:
	v_dual_mov_b32 v2, 0xff7fffff :: v_dual_lshlrev_b32 v1, 5, v0
	s_add_u32 s2, s16, s20
	s_addc_u32 s8, s17, s21
	v_mov_b32_e32 v5, v0
	s_delay_alu instid0(VALU_DEP_2) | instskip(NEXT) | instid1(VALU_DEP_1)
	v_add_co_u32 v3, s2, s2, v1
	v_add_co_ci_u32_e64 v4, null, s8, 0, s2
	v_mov_b32_e32 v1, 0x7f7fffff
	s_mov_b32 s8, 0
	s_lshl_b32 s9, s15, 5
.LBB9_17:                               ; =>This Inner Loop Header: Depth=1
	s_clause 0x1
	global_load_b128 v[6:9], v[3:4], off
	global_load_b128 v[10:13], v[3:4], off offset:16
	v_add_nc_u32_e32 v5, s15, v5
	v_add_co_u32 v3, vcc_lo, v3, s9
	v_add_co_ci_u32_e32 v4, vcc_lo, 0, v4, vcc_lo
	s_delay_alu instid0(VALU_DEP_3) | instskip(NEXT) | instid1(VALU_DEP_1)
	v_cmp_le_i32_e64 s2, s6, v5
	s_or_b32 s8, s2, s8
	s_waitcnt vmcnt(1)
	v_lshrrev_b32_e32 v14, 16, v6
	v_lshrrev_b32_e32 v15, 16, v7
	v_cvt_f32_f16_e32 v6, v6
	v_lshrrev_b32_e32 v16, 16, v8
	v_cvt_f32_f16_e32 v7, v7
	v_cvt_f32_f16_e32 v14, v14
	;; [unrolled: 1-line block ×3, first 2 shown]
	v_lshrrev_b32_e32 v17, 16, v9
	s_waitcnt vmcnt(0)
	v_lshrrev_b32_e32 v18, 16, v10
	v_lshrrev_b32_e32 v19, 16, v11
	v_min3_f32 v1, v1, v6, v14
	v_max3_f32 v2, v2, v6, v14
	v_cvt_f32_f16_e32 v6, v8
	v_cvt_f32_f16_e32 v8, v16
	v_lshrrev_b32_e32 v20, 16, v12
	v_min3_f32 v1, v1, v7, v15
	v_max3_f32 v2, v2, v7, v15
	v_cvt_f32_f16_e32 v7, v9
	v_cvt_f32_f16_e32 v9, v17
	;; [unrolled: 5-line block ×3, first 2 shown]
	s_delay_alu instid0(VALU_DEP_4) | instskip(NEXT) | instid1(VALU_DEP_4)
	v_min3_f32 v1, v1, v7, v9
	v_max3_f32 v2, v2, v7, v9
	v_cvt_f32_f16_e32 v7, v11
	v_cvt_f32_f16_e32 v9, v19
	s_delay_alu instid0(VALU_DEP_4) | instskip(NEXT) | instid1(VALU_DEP_4)
	v_min3_f32 v1, v1, v6, v8
	v_max3_f32 v2, v2, v6, v8
	v_cvt_f32_f16_e32 v6, v12
	v_cvt_f32_f16_e32 v8, v20
	;; [unrolled: 5-line block ×3, first 2 shown]
	s_delay_alu instid0(VALU_DEP_4) | instskip(NEXT) | instid1(VALU_DEP_4)
	v_min3_f32 v1, v1, v6, v8
	v_max3_f32 v2, v2, v6, v8
	s_delay_alu instid0(VALU_DEP_2) | instskip(NEXT) | instid1(VALU_DEP_2)
	v_min3_f32 v1, v1, v7, v9
	v_max3_f32 v2, v2, v7, v9
	s_and_not1_b32 exec_lo, exec_lo, s8
	s_cbranch_execnz .LBB9_17
; %bb.18:
	s_or_b32 exec_lo, exec_lo, s8
.LBB9_19:
	s_delay_alu instid0(SALU_CYCLE_1)
	s_or_b32 exec_lo, exec_lo, s7
.LBB9_20:
	v_mbcnt_lo_u32_b32 v3, -1, 0
	s_mov_b32 s2, exec_lo
	s_delay_alu instid0(VALU_DEP_1) | instskip(SKIP_2) | instid1(VALU_DEP_1)
	v_cmp_ne_u32_e32 vcc_lo, 31, v3
	v_add_nc_u32_e32 v7, 1, v3
	v_add_co_ci_u32_e32 v4, vcc_lo, 0, v3, vcc_lo
	v_lshlrev_b32_e32 v4, 2, v4
	ds_bpermute_b32 v6, v4, v1
	ds_bpermute_b32 v5, v4, v2
	v_and_b32_e32 v4, 0x3e0, v0
	s_delay_alu instid0(VALU_DEP_1) | instskip(NEXT) | instid1(VALU_DEP_1)
	v_sub_nc_u32_e64 v4, s15, v4 clamp
	v_cmpx_lt_u32_e64 v7, v4
	s_cbranch_execz .LBB9_22
; %bb.21:
	s_waitcnt lgkmcnt(1)
	v_dual_max_f32 v6, v6, v6 :: v_dual_max_f32 v1, v1, v1
	s_waitcnt lgkmcnt(0)
	v_dual_max_f32 v5, v5, v5 :: v_dual_max_f32 v2, v2, v2
	s_delay_alu instid0(VALU_DEP_1)
	v_dual_min_f32 v1, v1, v6 :: v_dual_max_f32 v2, v2, v5
.LBB9_22:
	s_or_b32 exec_lo, exec_lo, s2
	v_cmp_gt_u32_e32 vcc_lo, 30, v3
	v_add_nc_u32_e32 v7, 2, v3
	s_mov_b32 s2, exec_lo
	s_waitcnt lgkmcnt(0)
	v_cndmask_b32_e64 v5, 0, 1, vcc_lo
	s_delay_alu instid0(VALU_DEP_1) | instskip(NEXT) | instid1(VALU_DEP_1)
	v_lshlrev_b32_e32 v5, 1, v5
	v_add_lshl_u32 v5, v5, v3, 2
	ds_bpermute_b32 v6, v5, v1
	ds_bpermute_b32 v5, v5, v2
	v_cmpx_lt_u32_e64 v7, v4
	s_cbranch_execz .LBB9_24
; %bb.23:
	s_waitcnt lgkmcnt(1)
	v_dual_max_f32 v6, v6, v6 :: v_dual_max_f32 v1, v1, v1
	s_waitcnt lgkmcnt(0)
	v_dual_max_f32 v5, v5, v5 :: v_dual_max_f32 v2, v2, v2
	s_delay_alu instid0(VALU_DEP_1)
	v_dual_min_f32 v1, v1, v6 :: v_dual_max_f32 v2, v2, v5
.LBB9_24:
	s_or_b32 exec_lo, exec_lo, s2
	v_cmp_gt_u32_e32 vcc_lo, 28, v3
	v_add_nc_u32_e32 v7, 4, v3
	s_mov_b32 s2, exec_lo
	s_waitcnt lgkmcnt(0)
	v_cndmask_b32_e64 v5, 0, 1, vcc_lo
	s_delay_alu instid0(VALU_DEP_1) | instskip(NEXT) | instid1(VALU_DEP_1)
	v_lshlrev_b32_e32 v5, 2, v5
	v_add_lshl_u32 v5, v5, v3, 2
	ds_bpermute_b32 v6, v5, v1
	ds_bpermute_b32 v5, v5, v2
	;; [unrolled: 21-line block ×4, first 2 shown]
	v_cmpx_lt_u32_e64 v7, v4
	s_cbranch_execz .LBB9_30
; %bb.29:
	s_waitcnt lgkmcnt(1)
	v_dual_max_f32 v4, v6, v6 :: v_dual_max_f32 v1, v1, v1
	s_waitcnt lgkmcnt(0)
	v_dual_max_f32 v5, v5, v5 :: v_dual_max_f32 v2, v2, v2
	s_delay_alu instid0(VALU_DEP_1)
	v_dual_min_f32 v1, v1, v4 :: v_dual_max_f32 v2, v2, v5
.LBB9_30:
	s_or_b32 exec_lo, exec_lo, s2
	s_delay_alu instid0(SALU_CYCLE_1)
	s_mov_b32 s2, exec_lo
	v_cmpx_eq_u32_e32 0, v3
	s_cbranch_execz .LBB9_32
; %bb.31:
	v_lshrrev_b32_e32 v4, 2, v0
	s_delay_alu instid0(VALU_DEP_1)
	v_and_b32_e32 v4, 0xf8, v4
	ds_store_2addr_b32 v4, v1, v2 offset1:1
.LBB9_32:
	s_or_b32 exec_lo, exec_lo, s2
	s_load_b64 s[22:23], s[0:1], 0x8
	s_mov_b32 s2, exec_lo
	s_waitcnt lgkmcnt(0)
	s_barrier
	buffer_gl0_inv
	v_cmpx_gt_u32_e32 8, v0
	s_cbranch_execz .LBB9_40
; %bb.33:
	v_lshlrev_b32_e32 v1, 3, v3
	v_and_b32_e32 v4, 7, v3
	s_add_i32 s6, s15, 31
	s_mov_b32 s7, exec_lo
	s_lshr_b32 s6, s6, 5
	ds_load_2addr_b32 v[1:2], v1 offset1:1
	v_cmp_ne_u32_e32 vcc_lo, 7, v4
	v_add_nc_u32_e32 v7, 1, v4
	v_add_co_ci_u32_e32 v5, vcc_lo, 0, v3, vcc_lo
	s_delay_alu instid0(VALU_DEP_1)
	v_lshlrev_b32_e32 v5, 2, v5
	s_waitcnt lgkmcnt(0)
	ds_bpermute_b32 v6, v5, v1
	ds_bpermute_b32 v5, v5, v2
	v_cmpx_gt_u32_e64 s6, v7
	s_cbranch_execz .LBB9_35
; %bb.34:
	s_waitcnt lgkmcnt(1)
	v_dual_max_f32 v6, v6, v6 :: v_dual_max_f32 v1, v1, v1
	s_waitcnt lgkmcnt(0)
	v_dual_max_f32 v5, v5, v5 :: v_dual_max_f32 v2, v2, v2
	s_delay_alu instid0(VALU_DEP_1)
	v_dual_min_f32 v1, v1, v6 :: v_dual_max_f32 v2, v2, v5
.LBB9_35:
	s_or_b32 exec_lo, exec_lo, s7
	v_cmp_gt_u32_e32 vcc_lo, 6, v4
	v_add_nc_u32_e32 v7, 2, v4
	s_mov_b32 s7, exec_lo
	s_waitcnt lgkmcnt(0)
	v_cndmask_b32_e64 v5, 0, 1, vcc_lo
	s_delay_alu instid0(VALU_DEP_1) | instskip(NEXT) | instid1(VALU_DEP_1)
	v_lshlrev_b32_e32 v5, 1, v5
	v_add_lshl_u32 v5, v5, v3, 2
	ds_bpermute_b32 v6, v5, v1
	ds_bpermute_b32 v5, v5, v2
	v_cmpx_gt_u32_e64 s6, v7
	s_cbranch_execz .LBB9_37
; %bb.36:
	s_waitcnt lgkmcnt(1)
	v_dual_max_f32 v6, v6, v6 :: v_dual_max_f32 v1, v1, v1
	s_waitcnt lgkmcnt(0)
	v_dual_max_f32 v5, v5, v5 :: v_dual_max_f32 v2, v2, v2
	s_delay_alu instid0(VALU_DEP_1)
	v_dual_min_f32 v1, v1, v6 :: v_dual_max_f32 v2, v2, v5
.LBB9_37:
	s_or_b32 exec_lo, exec_lo, s7
	v_cmp_gt_u32_e32 vcc_lo, 4, v4
	v_add_nc_u32_e32 v4, 4, v4
	s_waitcnt lgkmcnt(0)
	v_cndmask_b32_e64 v5, 0, 1, vcc_lo
	s_delay_alu instid0(VALU_DEP_2) | instskip(NEXT) | instid1(VALU_DEP_2)
	v_cmp_gt_u32_e32 vcc_lo, s6, v4
	v_lshlrev_b32_e32 v5, 2, v5
	s_delay_alu instid0(VALU_DEP_1)
	v_add_lshl_u32 v3, v5, v3, 2
	ds_bpermute_b32 v5, v3, v1
	ds_bpermute_b32 v3, v3, v2
	s_and_saveexec_b32 s6, vcc_lo
	s_cbranch_execz .LBB9_39
; %bb.38:
	s_waitcnt lgkmcnt(0)
	v_dual_max_f32 v4, v5, v5 :: v_dual_max_f32 v3, v3, v3
	v_dual_max_f32 v1, v1, v1 :: v_dual_max_f32 v2, v2, v2
	s_delay_alu instid0(VALU_DEP_1)
	v_dual_min_f32 v1, v1, v4 :: v_dual_max_f32 v2, v2, v3
.LBB9_39:
	s_or_b32 exec_lo, exec_lo, s6
.LBB9_40:
	s_delay_alu instid0(SALU_CYCLE_1) | instskip(NEXT) | instid1(SALU_CYCLE_1)
	s_or_b32 exec_lo, exec_lo, s2
	s_mov_b32 s2, exec_lo
	v_cmpx_eq_u32_e32 0, v0
	s_cbranch_execz .LBB9_42
; %bb.41:
	v_sub_f32_e32 v2, v2, v1
	s_load_b128 s[8:11], s[0:1], 0x10
	s_lshl_b64 s[0:1], s[4:5], 2
	s_waitcnt lgkmcnt(0)
	s_delay_alu instid0(VALU_DEP_1) | instskip(SKIP_1) | instid1(VALU_DEP_2)
	v_div_scale_f32 v3, null, 0x437f0000, 0x437f0000, v2
	v_div_scale_f32 v6, vcc_lo, v2, 0x437f0000, v2
	v_rcp_f32_e32 v4, v3
	s_waitcnt_depctr 0xfff
	v_fma_f32 v5, -v3, v4, 1.0
	s_add_u32 s4, s8, s0
	s_addc_u32 s5, s9, s1
	s_add_u32 s0, s10, s0
	s_addc_u32 s1, s11, s1
	v_fmac_f32_e32 v4, v5, v4
	s_delay_alu instid0(VALU_DEP_1) | instskip(NEXT) | instid1(VALU_DEP_1)
	v_mul_f32_e32 v5, v6, v4
	v_fma_f32 v7, -v3, v5, v6
	s_delay_alu instid0(VALU_DEP_1) | instskip(NEXT) | instid1(VALU_DEP_1)
	v_fmac_f32_e32 v5, v7, v4
	v_fma_f32 v3, -v3, v5, v6
	s_delay_alu instid0(VALU_DEP_1) | instskip(NEXT) | instid1(VALU_DEP_1)
	v_div_fmas_f32 v3, v3, v4, v5
	v_div_fixup_f32 v2, v3, 0x437f0000, v2
	s_delay_alu instid0(VALU_DEP_1) | instskip(SKIP_1) | instid1(VALU_DEP_2)
	v_div_scale_f32 v3, null, v2, v2, v1
	v_div_scale_f32 v6, vcc_lo, v1, v2, v1
	v_rcp_f32_e32 v4, v3
	s_waitcnt_depctr 0xfff
	v_fma_f32 v5, -v3, v4, 1.0
	s_delay_alu instid0(VALU_DEP_1) | instskip(NEXT) | instid1(VALU_DEP_1)
	v_fmac_f32_e32 v4, v5, v4
	v_mul_f32_e32 v5, v6, v4
	s_delay_alu instid0(VALU_DEP_1) | instskip(NEXT) | instid1(VALU_DEP_1)
	v_fma_f32 v7, -v3, v5, v6
	v_fmac_f32_e32 v5, v7, v4
	s_delay_alu instid0(VALU_DEP_1) | instskip(NEXT) | instid1(VALU_DEP_1)
	v_fma_f32 v3, -v3, v5, v6
	v_div_fmas_f32 v3, v3, v4, v5
	s_delay_alu instid0(VALU_DEP_1) | instskip(SKIP_1) | instid1(VALU_DEP_2)
	v_div_fixup_f32 v1, v3, v2, v1
	v_mov_b32_e32 v3, 0
	v_sub_f32_e32 v1, 0xc3000000, v1
	s_delay_alu instid0(VALU_DEP_1) | instskip(NEXT) | instid1(VALU_DEP_1)
	v_rndne_f32_e32 v1, v1
	v_cvt_i32_f32_e32 v1, v1
	ds_store_b64 v3, v[1:2] offset:64
	s_clause 0x1
	global_store_b32 v3, v2, s[4:5]
	global_store_b32 v3, v1, s[0:1]
.LBB9_42:
	s_or_b32 exec_lo, exec_lo, s2
	v_mov_b32_e32 v1, 0
	s_waitcnt lgkmcnt(0)
	s_waitcnt_vscnt null, 0x0
	s_barrier
	buffer_gl0_inv
	s_add_u32 s24, s22, s18
	ds_load_b64 v[9:10], v1 offset:64
	s_addc_u32 s25, s23, s19
	s_mov_b32 s0, -1
	s_waitcnt lgkmcnt(0)
	v_div_scale_f32 v1, null, v10, v10, 1.0
	v_div_scale_f32 v4, vcc_lo, 1.0, v10, 1.0
	s_delay_alu instid0(VALU_DEP_2) | instskip(SKIP_2) | instid1(VALU_DEP_1)
	v_rcp_f32_e32 v2, v1
	s_waitcnt_depctr 0xfff
	v_fma_f32 v3, -v1, v2, 1.0
	v_fmac_f32_e32 v2, v3, v2
	s_delay_alu instid0(VALU_DEP_1) | instskip(NEXT) | instid1(VALU_DEP_1)
	v_mul_f32_e32 v3, v4, v2
	v_fma_f32 v5, -v1, v3, v4
	s_delay_alu instid0(VALU_DEP_1) | instskip(NEXT) | instid1(VALU_DEP_1)
	v_fmac_f32_e32 v3, v5, v2
	v_fma_f32 v1, -v1, v3, v4
	s_delay_alu instid0(VALU_DEP_1) | instskip(SKIP_1) | instid1(VALU_DEP_1)
	v_div_fmas_f32 v1, v1, v2, v3
	s_and_b32 vcc_lo, exec_lo, s3
	v_div_fixup_f32 v15, v1, v10, 1.0
	s_cbranch_vccz .LBB9_140
; %bb.43:
	s_sub_i32 s0, 0, s30
	s_mov_b32 s1, exec_lo
	s_bfe_u32 s0, s0, 0x40001
	s_delay_alu instid0(SALU_CYCLE_1) | instskip(NEXT) | instid1(SALU_CYCLE_1)
	s_min_i32 s26, s0, s33
	v_cmpx_gt_i32_e64 s26, v0
	s_cbranch_execz .LBB9_55
; %bb.44:
	v_cvt_f32_u32_e32 v1, s15
	s_sub_i32 s0, 0, s15
	v_add_nc_u32_e32 v3, s15, v0
	s_cmp_eq_u32 s15, 1
	s_mov_b32 s2, -1
	v_rcp_iflag_f32_e32 v1, v1
	s_delay_alu instid0(VALU_DEP_1) | instskip(SKIP_3) | instid1(VALU_DEP_1)
	v_cmp_gt_i32_e32 vcc_lo, s26, v3
	v_max_i32_e32 v4, s26, v3
	s_waitcnt_depctr 0xfff
	v_mul_f32_e32 v1, 0x4f7ffffe, v1
	v_cvt_u32_f32_e32 v1, v1
	s_delay_alu instid0(VALU_DEP_1) | instskip(SKIP_1) | instid1(VALU_DEP_1)
	v_mul_lo_u32 v2, s0, v1
	v_add_co_ci_u32_e64 v3, s0, s15, v0, vcc_lo
	v_sub_nc_u32_e32 v3, v4, v3
	s_delay_alu instid0(VALU_DEP_3) | instskip(NEXT) | instid1(VALU_DEP_1)
	v_mul_hi_u32 v2, v1, v2
	v_add_nc_u32_e32 v1, v1, v2
	s_delay_alu instid0(VALU_DEP_1) | instskip(NEXT) | instid1(VALU_DEP_1)
	v_mul_hi_u32 v1, v3, v1
	v_mul_lo_u32 v2, v1, s15
	s_delay_alu instid0(VALU_DEP_1) | instskip(SKIP_1) | instid1(VALU_DEP_2)
	v_sub_nc_u32_e32 v2, v3, v2
	v_add_nc_u32_e32 v3, 1, v1
	v_subrev_nc_u32_e32 v4, s15, v2
	v_cmp_le_u32_e64 s0, s15, v2
	s_delay_alu instid0(VALU_DEP_1) | instskip(NEXT) | instid1(VALU_DEP_3)
	v_cndmask_b32_e64 v1, v1, v3, s0
	v_cndmask_b32_e64 v2, v2, v4, s0
	s_delay_alu instid0(VALU_DEP_2) | instskip(NEXT) | instid1(VALU_DEP_2)
	v_add_nc_u32_e32 v3, 1, v1
	v_cmp_le_u32_e64 s0, s15, v2
	s_delay_alu instid0(VALU_DEP_1) | instskip(SKIP_1) | instid1(VALU_DEP_1)
	v_cndmask_b32_e64 v1, v1, v3, s0
	s_cselect_b32 s0, -1, 0
	v_add_co_ci_u32_e32 v3, vcc_lo, 1, v1, vcc_lo
	v_mov_b32_e32 v1, v0
	s_delay_alu instid0(VALU_DEP_2) | instskip(SKIP_1) | instid1(SALU_CYCLE_1)
	v_cmp_lt_u32_e32 vcc_lo, 1, v3
	s_and_b32 s3, vcc_lo, s0
	s_and_saveexec_b32 s0, s3
	s_cbranch_execz .LBB9_48
; %bb.45:
	v_dual_mov_b32 v5, v9 :: v_dual_and_b32 v4, -2, v3
	v_dual_mov_b32 v2, 0 :: v_dual_mov_b32 v1, v0
	s_mov_b32 s2, 0
	s_delay_alu instid0(VALU_DEP_2)
	v_mov_b32_e32 v6, v4
	s_movk_i32 s3, 0xff80
.LBB9_46:                               ; =>This Inner Loop Header: Depth=1
	s_delay_alu instid0(VALU_DEP_1) | instskip(NEXT) | instid1(VALU_DEP_2)
	v_lshlrev_b64 v[7:8], 1, v[1:2]
	v_add_nc_u32_e32 v6, -2, v6
	s_delay_alu instid0(VALU_DEP_2) | instskip(NEXT) | instid1(VALU_DEP_3)
	v_add_co_u32 v7, vcc_lo, s30, v7
	v_add_co_ci_u32_e32 v8, vcc_lo, s31, v8, vcc_lo
	global_load_b32 v7, v[7:8], off
	s_waitcnt vmcnt(0)
	v_lshrrev_b32_e32 v8, 16, v7
	v_cvt_f32_f16_e32 v7, v7
	s_delay_alu instid0(VALU_DEP_2) | instskip(NEXT) | instid1(VALU_DEP_2)
	v_cvt_f32_f16_e32 v8, v8
	v_mul_f32_e32 v7, v15, v7
	s_delay_alu instid0(VALU_DEP_1) | instskip(NEXT) | instid1(VALU_DEP_1)
	v_rndne_f32_e32 v7, v7
	v_cmp_nge_f32_e32 vcc_lo, 0xcf000000, v7
	v_cndmask_b32_e32 v10, 0xcf000000, v7, vcc_lo
	s_delay_alu instid0(VALU_DEP_1) | instskip(SKIP_1) | instid1(VALU_DEP_1)
	v_cvt_i32_f32_e32 v10, v10
	v_mul_f32_e32 v8, v15, v8
	v_rndne_f32_e32 v8, v8
	s_delay_alu instid0(VALU_DEP_1) | instskip(SKIP_2) | instid1(VALU_DEP_2)
	v_cmp_nge_f32_e32 vcc_lo, 0xcf000000, v8
	v_cndmask_b32_e32 v11, 0xcf000000, v8, vcc_lo
	v_cmp_nle_f32_e32 vcc_lo, 0x4f000000, v7
	v_cvt_i32_f32_e32 v11, v11
	v_cndmask_b32_e32 v7, 0x7fffffff, v10, vcc_lo
	v_cmp_nle_f32_e32 vcc_lo, 0x4f000000, v8
	s_delay_alu instid0(VALU_DEP_2) | instskip(SKIP_1) | instid1(VALU_DEP_2)
	v_dual_cndmask_b32 v8, 0x7fffffff, v11 :: v_dual_add_nc_u32 v7, v7, v9
	v_cmp_eq_u32_e32 vcc_lo, 0, v6
	v_med3_i32 v7, v7, s3, 0x7f
	s_delay_alu instid0(VALU_DEP_3) | instskip(SKIP_1) | instid1(VALU_DEP_2)
	v_add_nc_u32_e32 v8, v8, v5
	s_or_b32 s2, vcc_lo, s2
	v_and_b32_e32 v7, 0xff, v7
	s_delay_alu instid0(VALU_DEP_2) | instskip(NEXT) | instid1(VALU_DEP_1)
	v_med3_i32 v8, v8, s3, 0x7f
	v_lshlrev_b16 v8, 8, v8
	s_delay_alu instid0(VALU_DEP_1)
	v_or_b32_e32 v7, v7, v8
	global_store_b16 v1, v7, s[24:25]
	v_add_nc_u32_e32 v1, 2, v1
	s_and_not1_b32 exec_lo, exec_lo, s2
	s_cbranch_execnz .LBB9_46
; %bb.47:
	s_or_b32 exec_lo, exec_lo, s2
	v_cmp_ne_u32_e32 vcc_lo, v3, v4
	v_add_nc_u32_e32 v1, v0, v4
	s_or_not1_b32 s2, vcc_lo, exec_lo
.LBB9_48:
	s_or_b32 exec_lo, exec_lo, s0
	s_delay_alu instid0(SALU_CYCLE_1)
	s_and_b32 exec_lo, exec_lo, s2
	s_cbranch_execz .LBB9_55
; %bb.49:
	v_mov_b32_e32 v2, 0
	s_add_u32 s0, s22, s18
	s_addc_u32 s2, s23, s19
	v_add_co_u32 v4, s0, s0, v1
	s_delay_alu instid0(VALU_DEP_2) | instskip(SKIP_4) | instid1(VALU_DEP_2)
	v_lshlrev_b64 v[2:3], 1, v[1:2]
	v_add_co_ci_u32_e64 v5, null, s2, 0, s0
	s_add_u32 s0, s16, s20
	s_addc_u32 s2, s17, s21
	s_mov_b32 s4, 0
	v_add_co_u32 v2, vcc_lo, s0, v2
	v_add_co_ci_u32_e32 v3, vcc_lo, s2, v3, vcc_lo
	s_lshl_b32 s5, s15, 1
	s_mov_b64 s[2:3], 0
	s_movk_i32 s6, 0xff80
	s_set_inst_prefetch_distance 0x1
	s_branch .LBB9_52
	.p2align	6
.LBB9_50:                               ;   in Loop: Header=BB9_52 Depth=1
	s_or_b32 exec_lo, exec_lo, s7
.LBB9_51:                               ;   in Loop: Header=BB9_52 Depth=1
	s_delay_alu instid0(SALU_CYCLE_1)
	s_or_b32 exec_lo, exec_lo, s0
	v_add_co_u32 v7, vcc_lo, v4, s2
	s_add_u32 s2, s2, s15
	v_add_nc_u32_e32 v6, v6, v9
	v_add_nc_u32_e32 v10, s2, v1
	v_add_co_ci_u32_e32 v8, vcc_lo, s3, v5, vcc_lo
	v_add_co_u32 v2, s0, v2, s5
	s_delay_alu instid0(VALU_DEP_3)
	v_cmp_le_i32_e32 vcc_lo, s26, v10
	v_med3_i32 v6, v6, s6, 0x7f
	v_add_co_ci_u32_e64 v3, s0, 0, v3, s0
	s_addc_u32 s3, s3, 0
	s_or_b32 s4, vcc_lo, s4
	global_store_b8 v[7:8], v6, off
	s_and_not1_b32 exec_lo, exec_lo, s4
	s_cbranch_execz .LBB9_55
.LBB9_52:                               ; =>This Inner Loop Header: Depth=1
	global_load_u16 v6, v[2:3], off
	s_mov_b32 s0, exec_lo
	s_waitcnt vmcnt(0)
	v_cvt_f32_f16_e32 v6, v6
	s_delay_alu instid0(VALU_DEP_1) | instskip(NEXT) | instid1(VALU_DEP_1)
	v_mul_f32_e32 v6, v15, v6
	v_rndne_f32_e32 v7, v6
	v_bfrev_b32_e32 v6, -2
	s_delay_alu instid0(VALU_DEP_2)
	v_cmpx_nle_f32_e32 0x4f000000, v7
	s_cbranch_execz .LBB9_51
; %bb.53:                               ;   in Loop: Header=BB9_52 Depth=1
	v_bfrev_b32_e32 v6, 1
	s_mov_b32 s7, exec_lo
	v_cmpx_nge_f32_e32 0xcf000000, v7
	s_cbranch_execz .LBB9_50
; %bb.54:                               ;   in Loop: Header=BB9_52 Depth=1
	v_cvt_i32_f32_e32 v6, v7
	s_branch .LBB9_50
.LBB9_55:
	s_set_inst_prefetch_distance 0x2
	s_or_b32 exec_lo, exec_lo, s1
	s_ashr_i32 s27, s26, 31
	s_mov_b32 s40, exec_lo
	s_lshl_b64 s[28:29], s[26:27], 1
	s_delay_alu instid0(SALU_CYCLE_1) | instskip(SKIP_4) | instid1(SALU_CYCLE_1)
	s_add_u32 s35, s30, s28
	s_addc_u32 s36, s31, s29
	s_add_u32 s37, s24, s26
	s_addc_u32 s38, s25, s27
	s_sub_i32 s34, s33, s26
	s_ashr_i32 s0, s34, 31
	s_delay_alu instid0(SALU_CYCLE_1) | instskip(NEXT) | instid1(SALU_CYCLE_1)
	s_lshr_b32 s0, s0, 28
	s_add_i32 s0, s34, s0
	s_delay_alu instid0(SALU_CYCLE_1) | instskip(NEXT) | instid1(SALU_CYCLE_1)
	s_ashr_i32 s39, s0, 4
	v_cmpx_gt_i32_e64 s39, v0
	s_cbranch_execz .LBB9_127
; %bb.56:
	v_cvt_f32_u32_e32 v1, s15
	s_sub_i32 s0, 0, s15
	v_add_nc_u32_e32 v3, s15, v0
	s_cmp_eq_u32 s15, 1
	s_mov_b32 s42, 0
	v_rcp_iflag_f32_e32 v1, v1
	v_mov_b32_e32 v10, v0
	v_cmp_gt_i32_e32 vcc_lo, s39, v3
	v_max_i32_e32 v4, s39, v3
	s_waitcnt_depctr 0xfff
	v_mul_f32_e32 v1, 0x4f7ffffe, v1
	s_delay_alu instid0(VALU_DEP_1) | instskip(NEXT) | instid1(VALU_DEP_1)
	v_cvt_u32_f32_e32 v1, v1
	v_mul_lo_u32 v2, s0, v1
	v_add_co_ci_u32_e64 v3, s0, s15, v0, vcc_lo
	s_delay_alu instid0(VALU_DEP_1) | instskip(NEXT) | instid1(VALU_DEP_3)
	v_sub_nc_u32_e32 v3, v4, v3
	v_mul_hi_u32 v2, v1, v2
	s_delay_alu instid0(VALU_DEP_1) | instskip(NEXT) | instid1(VALU_DEP_1)
	v_add_nc_u32_e32 v1, v1, v2
	v_mul_hi_u32 v1, v3, v1
	s_delay_alu instid0(VALU_DEP_1) | instskip(NEXT) | instid1(VALU_DEP_1)
	v_mul_lo_u32 v2, v1, s15
	v_sub_nc_u32_e32 v2, v3, v2
	v_add_nc_u32_e32 v3, 1, v1
	s_delay_alu instid0(VALU_DEP_2) | instskip(SKIP_1) | instid1(VALU_DEP_1)
	v_subrev_nc_u32_e32 v4, s15, v2
	v_cmp_le_u32_e64 s0, s15, v2
	v_cndmask_b32_e64 v1, v1, v3, s0
	s_delay_alu instid0(VALU_DEP_3) | instskip(NEXT) | instid1(VALU_DEP_2)
	v_cndmask_b32_e64 v2, v2, v4, s0
	v_add_nc_u32_e32 v3, 1, v1
	s_delay_alu instid0(VALU_DEP_2) | instskip(NEXT) | instid1(VALU_DEP_1)
	v_cmp_le_u32_e64 s0, s15, v2
	v_cndmask_b32_e64 v1, v1, v3, s0
	s_cselect_b32 s0, -1, 0
	s_delay_alu instid0(VALU_DEP_1) | instskip(NEXT) | instid1(VALU_DEP_1)
	v_add_co_ci_u32_e32 v11, vcc_lo, 1, v1, vcc_lo
	v_cmp_lt_u32_e32 vcc_lo, 1, v11
	s_and_b32 s1, vcc_lo, s0
	s_mov_b32 s0, -1
	s_and_saveexec_b32 s41, s1
	s_cbranch_execz .LBB9_60
; %bb.57:
	v_dual_mov_b32 v12, v9 :: v_dual_add_nc_u32 v1, 1, v0
	v_and_b32_e32 v10, -2, v11
	s_movk_i32 s43, 0xff80
	s_delay_alu instid0(VALU_DEP_2) | instskip(NEXT) | instid1(VALU_DEP_2)
	v_dual_mov_b32 v4, v1 :: v_dual_mov_b32 v3, v0
	v_dual_mov_b32 v2, 0 :: v_dual_mov_b32 v13, v10
.LBB9_58:                               ; =>This Inner Loop Header: Depth=1
	s_delay_alu instid0(VALU_DEP_1) | instskip(NEXT) | instid1(VALU_DEP_2)
	v_dual_mov_b32 v1, v3 :: v_dual_mov_b32 v6, v2
	v_add_nc_u32_e32 v13, -2, v13
	s_delay_alu instid0(VALU_DEP_4) | instskip(NEXT) | instid1(VALU_DEP_3)
	v_dual_mov_b32 v5, v4 :: v_dual_add_nc_u32 v4, 2, v4
	v_lshlrev_b64 v[7:8], 5, v[1:2]
	v_lshlrev_b64 v[18:19], 4, v[1:2]
	s_delay_alu instid0(VALU_DEP_4) | instskip(NEXT) | instid1(VALU_DEP_4)
	v_cmp_eq_u32_e32 vcc_lo, 0, v13
	v_lshlrev_b64 v[16:17], 5, v[5:6]
	v_lshlrev_b64 v[20:21], 4, v[5:6]
	s_or_b32 s42, vcc_lo, s42
	v_add_co_u32 v24, vcc_lo, s35, v7
	v_add_co_ci_u32_e32 v25, vcc_lo, s36, v8, vcc_lo
	s_delay_alu instid0(VALU_DEP_4)
	v_add_co_u32 v28, vcc_lo, s35, v16
	v_add_co_ci_u32_e32 v29, vcc_lo, s36, v17, vcc_lo
	v_add_co_u32 v5, vcc_lo, s37, v18
	v_add_co_ci_u32_e32 v6, vcc_lo, s38, v19, vcc_lo
	;; [unrolled: 2-line block ×3, first 2 shown]
	s_clause 0x3
	global_load_b128 v[16:19], v[24:25], off
	global_load_b128 v[20:23], v[28:29], off
	global_load_b128 v[24:27], v[24:25], off offset:16
	global_load_b128 v[28:31], v[28:29], off offset:16
	s_waitcnt vmcnt(3)
	v_lshrrev_b32_e32 v1, 16, v16
	v_cvt_f32_f16_e32 v16, v16
	v_add_nc_u32_e32 v3, 2, v3
	s_waitcnt vmcnt(2)
	v_lshrrev_b32_e32 v35, 16, v21
	v_cvt_f32_f16_e32 v21, v21
	v_lshrrev_b32_e32 v32, 16, v18
	v_mul_f32_e32 v16, v15, v16
	v_lshrrev_b32_e32 v34, 16, v20
	v_cvt_f32_f16_e32 v20, v20
	v_cvt_f32_f16_e32 v18, v18
	v_lshrrev_b32_e32 v14, 16, v17
	v_rndne_f32_e32 v16, v16
	v_cvt_f32_f16_e32 v17, v17
	v_mul_f32_e32 v20, v15, v20
	v_lshrrev_b32_e32 v36, 16, v22
	v_lshrrev_b32_e32 v37, 16, v23
	v_cmp_nge_f32_e32 vcc_lo, 0xcf000000, v16
	v_mul_f32_e32 v21, v15, v21
	v_rndne_f32_e32 v20, v20
	v_cvt_f32_f16_e32 v22, v22
	v_cvt_f32_f16_e32 v23, v23
	v_cndmask_b32_e32 v46, 0xcf000000, v16, vcc_lo
	v_rndne_f32_e32 v21, v21
	v_mul_f32_e32 v18, v15, v18
	v_cmp_nge_f32_e32 vcc_lo, 0xcf000000, v20
	s_waitcnt vmcnt(1)
	v_lshrrev_b32_e32 v38, 16, v24
	v_cvt_f32_f16_e32 v24, v24
	v_mul_f32_e32 v22, v15, v22
	v_rndne_f32_e32 v18, v18
	v_cndmask_b32_e32 v47, 0xcf000000, v20, vcc_lo
	v_mul_f32_e32 v17, v15, v17
	v_lshrrev_b32_e32 v33, 16, v19
	v_cvt_f32_f16_e32 v19, v19
	v_rndne_f32_e32 v22, v22
	s_waitcnt vmcnt(0)
	v_lshrrev_b32_e32 v42, 16, v28
	v_rndne_f32_e32 v17, v17
	v_lshrrev_b32_e32 v43, 16, v29
	v_cvt_f32_f16_e32 v28, v28
	v_cvt_f32_f16_e32 v29, v29
	v_lshrrev_b32_e32 v40, 16, v26
	v_cmp_nge_f32_e32 vcc_lo, 0xcf000000, v17
	v_mul_f32_e32 v23, v15, v23
	v_cvt_f32_f16_e32 v26, v26
	v_lshrrev_b32_e32 v39, 16, v25
	v_cvt_f32_f16_e32 v25, v25
	v_cndmask_b32_e32 v48, 0xcf000000, v17, vcc_lo
	v_rndne_f32_e32 v23, v23
	v_mul_f32_e32 v24, v15, v24
	v_cmp_nge_f32_e32 vcc_lo, 0xcf000000, v21
	v_lshrrev_b32_e32 v44, 16, v30
	v_cvt_f32_f16_e32 v30, v30
	v_lshrrev_b32_e32 v45, 16, v31
	v_rndne_f32_e32 v24, v24
	v_mul_f32_e32 v19, v15, v19
	v_cndmask_b32_e32 v49, 0xcf000000, v21, vcc_lo
	v_cmp_nge_f32_e32 vcc_lo, 0xcf000000, v18
	v_cvt_f32_f16_e32 v31, v31
	v_lshrrev_b32_e32 v41, 16, v27
	v_rndne_f32_e32 v19, v19
	v_cvt_f32_f16_e32 v27, v27
	v_cndmask_b32_e32 v50, 0xcf000000, v18, vcc_lo
	v_cmp_nge_f32_e32 vcc_lo, 0xcf000000, v22
	v_mul_f32_e32 v28, v15, v28
	v_cvt_f32_f16_e32 v1, v1
	v_mul_f32_e32 v27, v15, v27
	v_cvt_f32_f16_e32 v36, v36
	v_cndmask_b32_e32 v51, 0xcf000000, v22, vcc_lo
	v_cmp_nge_f32_e32 vcc_lo, 0xcf000000, v19
	v_mul_f32_e32 v29, v15, v29
	v_rndne_f32_e32 v28, v28
	v_rndne_f32_e32 v27, v27
	v_cvt_f32_f16_e32 v34, v34
	v_cndmask_b32_e32 v52, 0xcf000000, v19, vcc_lo
	v_rndne_f32_e32 v29, v29
	v_mul_f32_e32 v26, v15, v26
	v_cmp_nge_f32_e32 vcc_lo, 0xcf000000, v23
	v_cvt_f32_f16_e32 v14, v14
	v_cvt_f32_f16_e32 v32, v32
	;; [unrolled: 1-line block ×3, first 2 shown]
	v_rndne_f32_e32 v26, v26
	v_mul_f32_e32 v25, v15, v25
	v_cndmask_b32_e32 v53, 0xcf000000, v23, vcc_lo
	v_cmp_nge_f32_e32 vcc_lo, 0xcf000000, v24
	v_cmp_nle_f32_e64 s1, 0x4f000000, v17
	v_cvt_f32_f16_e32 v35, v35
	v_rndne_f32_e32 v25, v25
	v_cvt_f32_f16_e32 v37, v37
	v_cndmask_b32_e32 v54, 0xcf000000, v24, vcc_lo
	v_cmp_nge_f32_e32 vcc_lo, 0xcf000000, v28
	v_mul_f32_e32 v30, v15, v30
	v_mul_f32_e32 v14, v15, v14
	v_mul_f32_e32 v33, v15, v33
	v_mul_f32_e32 v35, v15, v35
	v_cndmask_b32_e32 v55, 0xcf000000, v28, vcc_lo
	v_cmp_nge_f32_e32 vcc_lo, 0xcf000000, v25
	v_mul_f32_e32 v31, v15, v31
	v_rndne_f32_e32 v30, v30
	v_rndne_f32_e32 v14, v14
	;; [unrolled: 1-line block ×3, first 2 shown]
	v_cndmask_b32_e32 v56, 0xcf000000, v25, vcc_lo
	v_cmp_nge_f32_e32 vcc_lo, 0xcf000000, v29
	v_rndne_f32_e32 v31, v31
	v_cvt_i32_f32_e32 v47, v47
	v_rndne_f32_e32 v35, v35
	v_cmp_nge_f32_e64 s2, 0xcf000000, v14
	v_cndmask_b32_e32 v57, 0xcf000000, v29, vcc_lo
	v_cmp_nge_f32_e32 vcc_lo, 0xcf000000, v26
	v_cmp_nge_f32_e64 s6, 0xcf000000, v33
	v_cmp_nle_f32_e64 s3, 0x4f000000, v18
	v_cndmask_b32_e64 v17, 0xcf000000, v14, s2
	v_cmp_nge_f32_e64 s2, 0xcf000000, v35
	v_cndmask_b32_e32 v58, 0xcf000000, v26, vcc_lo
	v_cmp_nge_f32_e32 vcc_lo, 0xcf000000, v30
	v_mul_f32_e32 v36, v15, v36
	v_cmp_nle_f32_e64 s5, 0x4f000000, v19
	v_cndmask_b32_e64 v19, 0xcf000000, v33, s6
	v_cvt_f32_f16_e32 v38, v38
	v_cndmask_b32_e32 v59, 0xcf000000, v30, vcc_lo
	v_cmp_nge_f32_e32 vcc_lo, 0xcf000000, v27
	v_mul_f32_e32 v1, v15, v1
	v_rndne_f32_e32 v36, v36
	v_cvt_i32_f32_e32 v55, v55
	v_cvt_f32_f16_e32 v42, v42
	v_cndmask_b32_e32 v60, 0xcf000000, v27, vcc_lo
	v_rndne_f32_e32 v1, v1
	v_cmp_nge_f32_e32 vcc_lo, 0xcf000000, v31
	v_mul_f32_e32 v34, v15, v34
	v_mul_f32_e32 v42, v15, v42
	v_cvt_f32_f16_e32 v39, v39
	v_cmp_nge_f32_e64 s0, 0xcf000000, v1
	v_cndmask_b32_e32 v61, 0xcf000000, v31, vcc_lo
	v_rndne_f32_e32 v34, v34
	v_cmp_nle_f32_e32 vcc_lo, 0x4f000000, v20
	v_cvt_i32_f32_e32 v20, v46
	v_cndmask_b32_e64 v46, 0xcf000000, v1, s0
	v_mul_f32_e32 v37, v15, v37
	v_cmp_nge_f32_e64 s0, 0xcf000000, v34
	v_rndne_f32_e32 v42, v42
	v_cvt_f32_f16_e32 v40, v40
	v_cvt_i32_f32_e32 v53, v53
	v_rndne_f32_e32 v37, v37
	v_cndmask_b32_e64 v62, 0xcf000000, v34, s0
	v_cmp_nle_f32_e64 s0, 0x4f000000, v21
	v_cvt_i32_f32_e32 v21, v48
	v_cndmask_b32_e64 v48, 0xcf000000, v35, s2
	v_cmp_nge_f32_e64 s6, 0xcf000000, v37
	v_cmp_nle_f32_e64 s2, 0x4f000000, v22
	v_cvt_i32_f32_e32 v22, v50
	v_cndmask_b32_e64 v21, 0x7fffffff, v21, s1
	v_mul_f32_e32 v32, v15, v32
	v_cmp_nle_f32_e64 s7, 0x4f000000, v24
	v_cvt_i32_f32_e32 v17, v17
	v_cmp_nle_f32_e64 s1, 0x4f000000, v14
	v_add_nc_u32_e32 v21, v21, v9
	v_rndne_f32_e32 v32, v32
	v_cvt_f32_f16_e32 v43, v43
	v_cvt_f32_f16_e32 v44, v44
	v_cmp_nle_f32_e64 s9, 0x4f000000, v25
	v_cndmask_b32_e64 v14, 0x7fffffff, v22, s3
	v_cmp_nge_f32_e64 s4, 0xcf000000, v32
	v_cmp_nle_f32_e64 s3, 0x4f000000, v32
	v_cndmask_b32_e64 v17, 0x7fffffff, v17, s1
	v_mul_f32_e32 v40, v15, v40
	v_dual_mul_f32 v43, v15, v43 :: v_dual_add_nc_u32 v14, v14, v9
	v_cndmask_b32_e64 v18, 0xcf000000, v32, s4
	v_cmp_nge_f32_e64 s4, 0xcf000000, v36
	v_add_nc_u32_e32 v17, v17, v9
	v_rndne_f32_e32 v40, v40
	v_rndne_f32_e32 v43, v43
	v_cmp_nle_f32_e64 s11, 0x4f000000, v26
	v_cndmask_b32_e64 v50, 0xcf000000, v36, s4
	v_cmp_nle_f32_e64 s4, 0x4f000000, v23
	v_cvt_i32_f32_e32 v23, v52
	v_cndmask_b32_e64 v52, 0xcf000000, v37, s6
	v_cmp_nle_f32_e64 s6, 0x4f000000, v28
	v_cvt_i32_f32_e32 v28, v54
	v_cndmask_b32_e64 v32, 0x7fffffff, v53, s4
	v_cndmask_b32_e64 v23, 0x7fffffff, v23, s5
	v_cmp_nle_f32_e64 s5, 0x4f000000, v33
	v_cndmask_b32_e64 v33, 0x7fffffff, v55, s6
	v_mul_f32_e32 v38, v15, v38
	v_dual_mul_f32 v39, v15, v39 :: v_dual_add_nc_u32 v32, v32, v12
	v_cmp_nge_f32_e64 s12, 0xcf000000, v40
	s_delay_alu instid0(VALU_DEP_4) | instskip(NEXT) | instid1(VALU_DEP_4)
	v_add_nc_u32_e32 v33, v33, v12
	v_rndne_f32_e32 v38, v38
	s_delay_alu instid0(VALU_DEP_4)
	v_rndne_f32_e32 v39, v39
	v_cvt_f32_f16_e32 v41, v41
	v_cndmask_b32_e64 v26, 0xcf000000, v40, s12
	v_cvt_i32_f32_e32 v61, v61
	v_cmp_nge_f32_e64 s8, 0xcf000000, v38
	v_cmp_nge_f32_e64 s10, 0xcf000000, v39
	v_cvt_f32_f16_e32 v45, v45
	v_cvt_i32_f32_e32 v57, v57
	v_cndmask_b32_e64 v28, 0x7fffffff, v28, s7
	v_cndmask_b32_e64 v24, 0xcf000000, v38, s8
	v_cmp_nge_f32_e64 s8, 0xcf000000, v42
	v_cndmask_b32_e64 v25, 0xcf000000, v39, s10
	v_cmp_nge_f32_e64 s10, 0xcf000000, v43
	v_cmp_nle_f32_e64 s7, 0x4f000000, v38
	v_cmp_nle_f32_e64 s13, 0x4f000000, v27
	v_cndmask_b32_e64 v54, 0xcf000000, v42, s8
	v_cmp_nle_f32_e64 s8, 0x4f000000, v29
	v_cvt_i32_f32_e32 v29, v56
	v_cndmask_b32_e64 v56, 0xcf000000, v43, s10
	v_cmp_nle_f32_e64 s10, 0x4f000000, v30
	v_cvt_i32_f32_e32 v30, v58
	v_cndmask_b32_e64 v38, 0x7fffffff, v57, s8
	v_cndmask_b32_e64 v29, 0x7fffffff, v29, s9
	v_mul_f32_e32 v44, v15, v44
	v_mul_f32_e32 v45, v15, v45
	v_cndmask_b32_e64 v30, 0x7fffffff, v30, s11
	v_add_nc_u32_e32 v38, v38, v12
	v_add_nc_u32_e32 v29, v29, v9
	v_rndne_f32_e32 v44, v44
	v_cmp_nle_f32_e64 s11, 0x4f000000, v40
	v_rndne_f32_e32 v45, v45
	v_cvt_i32_f32_e32 v49, v49
	v_cvt_i32_f32_e32 v51, v51
	v_cmp_nge_f32_e64 s12, 0xcf000000, v44
	v_cvt_i32_f32_e32 v59, v59
	v_cvt_i32_f32_e32 v48, v48
	v_cmp_nle_f32_e64 s4, 0x4f000000, v37
	v_cndmask_b32_e64 v22, 0x7fffffff, v51, s2
	v_cndmask_b32_e64 v58, 0xcf000000, v44, s12
	v_cmp_nle_f32_e64 s12, 0x4f000000, v31
	v_cvt_i32_f32_e32 v31, v60
	v_cmp_nle_f32_e64 s2, 0x4f000000, v36
	v_cvt_i32_f32_e32 v36, v52
	v_cvt_i32_f32_e32 v37, v54
	v_cndmask_b32_e64 v40, 0x7fffffff, v61, s12
	v_mul_f32_e32 v41, v15, v41
	v_cmp_nle_f32_e64 s6, 0x4f000000, v42
	v_cvt_i32_f32_e32 v42, v56
	v_cmp_nle_f32_e64 s8, 0x4f000000, v43
	v_add_nc_u32_e32 v40, v40, v12
	v_rndne_f32_e32 v41, v41
	v_cmp_nle_f32_e64 s9, 0x4f000000, v39
	v_cndmask_b32_e64 v39, 0x7fffffff, v59, s10
	v_cvt_i32_f32_e32 v43, v58
	v_cmp_nle_f32_e64 s10, 0x4f000000, v44
	v_cmp_nge_f32_e64 s14, 0xcf000000, v41
	v_cmp_nle_f32_e64 s12, 0x4f000000, v45
	v_cndmask_b32_e64 v36, 0x7fffffff, v36, s4
	v_cndmask_b32_e64 v37, 0x7fffffff, v37, s6
	v_cndmask_b32_e64 v42, 0x7fffffff, v42, s8
	v_cndmask_b32_e64 v27, 0xcf000000, v41, s14
	v_cmp_nge_f32_e64 s14, 0xcf000000, v45
	v_cndmask_b32_e64 v43, 0x7fffffff, v43, s10
	v_cvt_i32_f32_e32 v18, v18
	v_cvt_i32_f32_e32 v19, v19
	;; [unrolled: 1-line block ×3, first 2 shown]
	v_cndmask_b32_e64 v60, 0xcf000000, v45, s14
	v_cmp_nle_f32_e64 s14, 0x4f000000, v16
	v_cndmask_b32_e64 v31, 0x7fffffff, v31, s13
	v_cmp_nle_f32_e64 s13, 0x4f000000, v41
	v_add_nc_u32_e32 v22, v22, v12
	v_cvt_i32_f32_e32 v44, v60
	v_cndmask_b32_e64 v16, 0x7fffffff, v20, s14
	v_cndmask_b32_e32 v20, 0x7fffffff, v47, vcc_lo
	v_cvt_i32_f32_e32 v47, v62
	v_cmp_nle_f32_e32 vcc_lo, 0x4f000000, v34
	v_cvt_i32_f32_e32 v34, v46
	v_cndmask_b32_e64 v46, 0x7fffffff, v49, s0
	v_cmp_nle_f32_e64 s0, 0x4f000000, v35
	v_cvt_i32_f32_e32 v35, v50
	v_cmp_nle_f32_e64 s14, 0x4f000000, v1
	v_add_nc_u32_e32 v1, v20, v12
	v_cndmask_b32_e64 v44, 0x7fffffff, v44, s12
	v_cndmask_b32_e64 v45, 0x7fffffff, v48, s0
	;; [unrolled: 1-line block ×4, first 2 shown]
	v_dual_cndmask_b32 v34, 0x7fffffff, v47 :: v_dual_add_nc_u32 v41, v46, v12
	v_add_nc_u32_e32 v28, v28, v9
	v_add_nc_u32_e32 v39, v39, v12
	;; [unrolled: 1-line block ×3, first 2 shown]
	s_delay_alu instid0(VALU_DEP_4)
	v_add_nc_u32_e32 v34, v34, v12
	v_add_nc_u32_e32 v35, v35, v12
	;; [unrolled: 1-line block ×8, first 2 shown]
	v_cndmask_b32_e64 v18, 0x7fffffff, v18, s3
	v_cndmask_b32_e64 v19, 0x7fffffff, v19, s5
	;; [unrolled: 1-line block ×3, first 2 shown]
	v_med3_i32 v1, v1, s43, 0x7f
	v_add_nc_u32_e32 v20, v20, v9
	v_med3_i32 v41, v41, s43, 0x7f
	v_med3_i32 v22, v22, s43, 0x7f
	;; [unrolled: 1-line block ×16, first 2 shown]
	v_cvt_i32_f32_e32 v25, v25
	v_med3_i32 v16, v16, s43, 0x7f
	v_cvt_i32_f32_e32 v26, v26
	v_cvt_i32_f32_e32 v27, v27
	v_add_nc_u32_e32 v18, v18, v9
	v_add_nc_u32_e32 v19, v19, v9
	;; [unrolled: 1-line block ×4, first 2 shown]
	v_and_b32_e32 v1, 0xff, v1
	v_med3_i32 v20, v20, s43, 0x7f
	v_and_b32_e32 v41, 0xff, v41
	v_and_b32_e32 v22, 0xff, v22
	;; [unrolled: 1-line block ×7, first 2 shown]
	s_clause 0x1
	global_store_b8 v[5:6], v28, off offset:8
	global_store_b8 v[5:6], v16, off
	v_lshlrev_b16 v16, 8, v34
	v_lshlrev_b16 v28, 8, v45
	;; [unrolled: 1-line block ×8, first 2 shown]
	v_cndmask_b32_e64 v25, 0x7fffffff, v25, s9
	v_med3_i32 v21, v21, s43, 0x7f
	v_cndmask_b32_e64 v26, 0x7fffffff, v26, s11
	v_med3_i32 v17, v17, s43, 0x7f
	v_med3_i32 v14, v14, s43, 0x7f
	v_cndmask_b32_e64 v27, 0x7fffffff, v27, s13
	v_med3_i32 v18, v18, s43, 0x7f
	v_med3_i32 v19, v19, s43, 0x7f
	;; [unrolled: 1-line block ×5, first 2 shown]
	s_clause 0x8
	global_store_b8 v[5:6], v20, off offset:1
	global_store_b8 v[5:6], v21, off offset:2
	global_store_b8 v[5:6], v17, off offset:3
	global_store_b8 v[5:6], v14, off offset:4
	global_store_b8 v[5:6], v18, off offset:5
	global_store_b8 v[5:6], v23, off offset:6
	global_store_b8 v[5:6], v19, off offset:7
	global_store_b8 v[5:6], v24, off offset:9
	global_store_b8 v[5:6], v29, off offset:10
	v_or_b32_e32 v1, v1, v16
	v_or_b32_e32 v14, v41, v28
	;; [unrolled: 1-line block ×8, first 2 shown]
	v_add_nc_u32_e32 v30, v30, v9
	v_add_nc_u32_e32 v25, v25, v9
	;; [unrolled: 1-line block ×5, first 2 shown]
	v_and_b32_e32 v17, 0xffff, v17
	v_lshlrev_b32_e32 v18, 16, v18
	v_and_b32_e32 v22, 0xffff, v19
	v_lshlrev_b32_e32 v20, 16, v20
	;; [unrolled: 2-line block ×4, first 2 shown]
	v_med3_i32 v30, v30, s43, 0x7f
	v_med3_i32 v25, v25, s43, 0x7f
	v_med3_i32 v26, v26, s43, 0x7f
	v_med3_i32 v31, v31, s43, 0x7f
	v_med3_i32 v27, v27, s43, 0x7f
	v_or_b32_e32 v19, v17, v18
	v_or_b32_e32 v18, v22, v20
	;; [unrolled: 1-line block ×4, first 2 shown]
	s_clause 0x5
	global_store_b8 v[5:6], v25, off offset:11
	global_store_b8 v[5:6], v30, off offset:12
	;; [unrolled: 1-line block ×5, first 2 shown]
	global_store_b128 v[7:8], v[16:19], off
	s_and_not1_b32 exec_lo, exec_lo, s42
	s_cbranch_execnz .LBB9_58
; %bb.59:
	s_or_b32 exec_lo, exec_lo, s42
	v_cmp_ne_u32_e32 vcc_lo, v11, v10
	v_add_nc_u32_e32 v10, v0, v10
	s_or_not1_b32 s0, vcc_lo, exec_lo
.LBB9_60:
	s_or_b32 exec_lo, exec_lo, s41
	s_delay_alu instid0(SALU_CYCLE_1)
	s_and_b32 exec_lo, exec_lo, s0
	s_cbranch_execz .LBB9_127
; %bb.61:
	v_mov_b32_e32 v11, 0
	s_add_u32 s0, s26, s18
	s_addc_u32 s1, s27, s19
	s_add_u32 s0, s22, s0
	s_addc_u32 s2, s23, s1
	v_lshlrev_b64 v[1:2], 4, v[10:11]
	v_lshlrev_b64 v[3:4], 5, v[10:11]
	s_lshl_b32 s1, s15, 4
	s_movk_i32 s4, 0xff80
	s_delay_alu instid0(VALU_DEP_2)
	v_add_co_u32 v11, vcc_lo, s0, v1
	s_add_u32 s0, s16, s28
	v_add_co_ci_u32_e32 v12, vcc_lo, s2, v2, vcc_lo
	s_addc_u32 s2, s17, s29
	s_add_u32 s0, s0, s20
	s_addc_u32 s2, s2, s21
	v_add_co_u32 v13, vcc_lo, s0, v3
	v_add_co_ci_u32_e32 v14, vcc_lo, s2, v4, vcc_lo
	s_mov_b32 s2, 0
	s_lshl_b32 s3, s15, 5
	s_branch .LBB9_64
.LBB9_62:                               ;   in Loop: Header=BB9_64 Depth=1
	s_or_b32 exec_lo, exec_lo, s5
.LBB9_63:                               ;   in Loop: Header=BB9_64 Depth=1
	s_delay_alu instid0(SALU_CYCLE_1)
	s_or_b32 exec_lo, exec_lo, s0
	v_add_nc_u32_e32 v4, v24, v9
	v_add_nc_u32_e32 v21, v21, v9
	;; [unrolled: 1-line block ×5, first 2 shown]
	v_med3_i32 v4, v4, s4, 0x7f
	v_med3_i32 v21, v21, s4, 0x7f
	;; [unrolled: 1-line block ×4, first 2 shown]
	v_add_nc_u32_e32 v2, v2, v9
	v_add_nc_u32_e32 v22, v22, v9
	;; [unrolled: 1-line block ×9, first 2 shown]
	v_lshlrev_b16 v3, 8, v3
	v_and_b32_e32 v4, 0xff, v4
	v_lshlrev_b16 v21, 8, v21
	v_and_b32_e32 v8, 0xff, v8
	v_add_nc_u32_e32 v16, v16, v9
	v_add_nc_u32_e32 v17, v17, v9
	v_med3_i32 v23, v23, s4, 0x7f
	v_med3_i32 v2, v2, s4, 0x7f
	;; [unrolled: 1-line block ×10, first 2 shown]
	v_or_b32_e32 v3, v4, v3
	v_or_b32_e32 v4, v8, v21
	v_med3_i32 v8, v16, s4, 0x7f
	v_med3_i32 v16, v17, s4, 0x7f
	v_lshlrev_b16 v23, 8, v23
	v_and_b32_e32 v2, 0xff, v2
	v_and_b32_e32 v17, 0xffff, v4
	v_lshlrev_b16 v4, 8, v22
	v_and_b32_e32 v1, 0xff, v1
	v_lshlrev_b16 v19, 8, v19
	;; [unrolled: 2-line block ×5, first 2 shown]
	v_and_b32_e32 v18, 0xff, v18
	v_or_b32_e32 v2, v2, v23
	v_or_b32_e32 v1, v1, v4
	;; [unrolled: 1-line block ×6, first 2 shown]
	v_and_b32_e32 v2, 0xffff, v2
	v_lshlrev_b32_e32 v3, 16, v3
	v_lshlrev_b32_e32 v1, 16, v1
	v_and_b32_e32 v8, 0xffff, v4
	v_lshlrev_b32_e32 v6, 16, v6
	v_and_b32_e32 v7, 0xffff, v7
	v_lshlrev_b32_e32 v5, 16, v5
	v_or_b32_e32 v4, v2, v3
	v_or_b32_e32 v3, v17, v1
	;; [unrolled: 1-line block ×3, first 2 shown]
	v_add_nc_u32_e32 v10, s15, v10
	v_or_b32_e32 v1, v7, v5
	v_add_co_u32 v13, s0, v13, s3
	s_delay_alu instid0(VALU_DEP_1)
	v_add_co_ci_u32_e64 v14, s0, 0, v14, s0
	global_store_b128 v[11:12], v[1:4], off
	v_add_co_u32 v11, vcc_lo, v11, s1
	v_add_co_ci_u32_e32 v12, vcc_lo, 0, v12, vcc_lo
	v_cmp_le_i32_e32 vcc_lo, s39, v10
	s_or_b32 s2, vcc_lo, s2
	s_delay_alu instid0(SALU_CYCLE_1)
	s_and_not1_b32 exec_lo, exec_lo, s2
	s_cbranch_execz .LBB9_127
.LBB9_64:                               ; =>This Inner Loop Header: Depth=1
	s_clause 0x1
	global_load_b128 v[5:8], v[13:14], off
	global_load_b128 v[1:4], v[13:14], off offset:16
	v_bfrev_b32_e32 v17, -2
	s_mov_b32 s0, exec_lo
	s_waitcnt vmcnt(1)
	v_cvt_f32_f16_e32 v16, v5
	s_delay_alu instid0(VALU_DEP_1) | instskip(NEXT) | instid1(VALU_DEP_1)
	v_mul_f32_e32 v16, v15, v16
	v_rndne_f32_e32 v18, v16
	v_bfrev_b32_e32 v16, -2
	s_delay_alu instid0(VALU_DEP_2)
	v_cmpx_nle_f32_e32 0x4f000000, v18
	s_cbranch_execz .LBB9_68
; %bb.65:                               ;   in Loop: Header=BB9_64 Depth=1
	v_bfrev_b32_e32 v17, 1
	s_mov_b32 s5, exec_lo
	v_cmpx_nge_f32_e32 0xcf000000, v18
; %bb.66:                               ;   in Loop: Header=BB9_64 Depth=1
	v_cvt_i32_f32_e32 v17, v18
; %bb.67:                               ;   in Loop: Header=BB9_64 Depth=1
	s_or_b32 exec_lo, exec_lo, s5
.LBB9_68:                               ;   in Loop: Header=BB9_64 Depth=1
	s_delay_alu instid0(SALU_CYCLE_1) | instskip(SKIP_2) | instid1(VALU_DEP_1)
	s_or_b32 exec_lo, exec_lo, s0
	v_lshrrev_b32_e32 v5, 16, v5
	s_mov_b32 s0, exec_lo
	v_cvt_f32_f16_e32 v5, v5
	s_delay_alu instid0(VALU_DEP_1) | instskip(NEXT) | instid1(VALU_DEP_1)
	v_mul_f32_e32 v5, v15, v5
	v_rndne_f32_e32 v5, v5
	s_delay_alu instid0(VALU_DEP_1)
	v_cmpx_nle_f32_e32 0x4f000000, v5
	s_cbranch_execz .LBB9_72
; %bb.69:                               ;   in Loop: Header=BB9_64 Depth=1
	v_bfrev_b32_e32 v16, 1
	s_mov_b32 s5, exec_lo
	v_cmpx_nge_f32_e32 0xcf000000, v5
; %bb.70:                               ;   in Loop: Header=BB9_64 Depth=1
	v_cvt_i32_f32_e32 v16, v5
; %bb.71:                               ;   in Loop: Header=BB9_64 Depth=1
	s_or_b32 exec_lo, exec_lo, s5
.LBB9_72:                               ;   in Loop: Header=BB9_64 Depth=1
	s_delay_alu instid0(SALU_CYCLE_1) | instskip(SKIP_3) | instid1(VALU_DEP_2)
	s_or_b32 exec_lo, exec_lo, s0
	v_cvt_f32_f16_e32 v5, v6
	v_bfrev_b32_e32 v18, -2
	s_mov_b32 s0, exec_lo
	v_mul_f32_e32 v5, v15, v5
	s_delay_alu instid0(VALU_DEP_1) | instskip(SKIP_1) | instid1(VALU_DEP_2)
	v_rndne_f32_e32 v19, v5
	v_bfrev_b32_e32 v5, -2
	v_cmpx_nle_f32_e32 0x4f000000, v19
	s_cbranch_execz .LBB9_76
; %bb.73:                               ;   in Loop: Header=BB9_64 Depth=1
	v_bfrev_b32_e32 v18, 1
	s_mov_b32 s5, exec_lo
	v_cmpx_nge_f32_e32 0xcf000000, v19
; %bb.74:                               ;   in Loop: Header=BB9_64 Depth=1
	v_cvt_i32_f32_e32 v18, v19
; %bb.75:                               ;   in Loop: Header=BB9_64 Depth=1
	s_or_b32 exec_lo, exec_lo, s5
.LBB9_76:                               ;   in Loop: Header=BB9_64 Depth=1
	s_delay_alu instid0(SALU_CYCLE_1) | instskip(SKIP_2) | instid1(VALU_DEP_1)
	s_or_b32 exec_lo, exec_lo, s0
	v_lshrrev_b32_e32 v6, 16, v6
	s_mov_b32 s0, exec_lo
	v_cvt_f32_f16_e32 v6, v6
	s_delay_alu instid0(VALU_DEP_1) | instskip(NEXT) | instid1(VALU_DEP_1)
	v_mul_f32_e32 v6, v15, v6
	v_rndne_f32_e32 v6, v6
	s_delay_alu instid0(VALU_DEP_1)
	v_cmpx_nle_f32_e32 0x4f000000, v6
	s_cbranch_execz .LBB9_80
; %bb.77:                               ;   in Loop: Header=BB9_64 Depth=1
	v_bfrev_b32_e32 v5, 1
	s_mov_b32 s5, exec_lo
	v_cmpx_nge_f32_e32 0xcf000000, v6
; %bb.78:                               ;   in Loop: Header=BB9_64 Depth=1
	v_cvt_i32_f32_e32 v5, v6
; %bb.79:                               ;   in Loop: Header=BB9_64 Depth=1
	s_or_b32 exec_lo, exec_lo, s5
.LBB9_80:                               ;   in Loop: Header=BB9_64 Depth=1
	s_delay_alu instid0(SALU_CYCLE_1) | instskip(SKIP_3) | instid1(VALU_DEP_2)
	s_or_b32 exec_lo, exec_lo, s0
	v_cvt_f32_f16_e32 v6, v7
	v_bfrev_b32_e32 v19, -2
	s_mov_b32 s0, exec_lo
	v_mul_f32_e32 v6, v15, v6
	s_delay_alu instid0(VALU_DEP_1) | instskip(SKIP_1) | instid1(VALU_DEP_2)
	v_rndne_f32_e32 v20, v6
	v_bfrev_b32_e32 v6, -2
	;; [unrolled: 40-line block ×3, first 2 shown]
	v_cmpx_nle_f32_e32 0x4f000000, v21
	s_cbranch_execz .LBB9_92
; %bb.89:                               ;   in Loop: Header=BB9_64 Depth=1
	v_bfrev_b32_e32 v7, 1
	s_mov_b32 s5, exec_lo
	v_cmpx_nge_f32_e32 0xcf000000, v21
; %bb.90:                               ;   in Loop: Header=BB9_64 Depth=1
	v_cvt_i32_f32_e32 v7, v21
; %bb.91:                               ;   in Loop: Header=BB9_64 Depth=1
	s_or_b32 exec_lo, exec_lo, s5
.LBB9_92:                               ;   in Loop: Header=BB9_64 Depth=1
	s_delay_alu instid0(SALU_CYCLE_1) | instskip(SKIP_2) | instid1(VALU_DEP_1)
	s_or_b32 exec_lo, exec_lo, s0
	v_lshrrev_b32_e32 v8, 16, v8
	s_mov_b32 s0, exec_lo
	v_cvt_f32_f16_e32 v8, v8
	s_delay_alu instid0(VALU_DEP_1) | instskip(NEXT) | instid1(VALU_DEP_1)
	v_mul_f32_e32 v8, v15, v8
	v_rndne_f32_e32 v8, v8
	s_delay_alu instid0(VALU_DEP_1)
	v_cmpx_nle_f32_e32 0x4f000000, v8
	s_cbranch_execz .LBB9_96
; %bb.93:                               ;   in Loop: Header=BB9_64 Depth=1
	v_bfrev_b32_e32 v20, 1
	s_mov_b32 s5, exec_lo
	v_cmpx_nge_f32_e32 0xcf000000, v8
; %bb.94:                               ;   in Loop: Header=BB9_64 Depth=1
	v_cvt_i32_f32_e32 v20, v8
; %bb.95:                               ;   in Loop: Header=BB9_64 Depth=1
	s_or_b32 exec_lo, exec_lo, s5
.LBB9_96:                               ;   in Loop: Header=BB9_64 Depth=1
	s_delay_alu instid0(SALU_CYCLE_1) | instskip(SKIP_4) | instid1(VALU_DEP_2)
	s_or_b32 exec_lo, exec_lo, s0
	s_waitcnt vmcnt(0)
	v_cvt_f32_f16_e32 v8, v1
	v_bfrev_b32_e32 v21, -2
	s_mov_b32 s0, exec_lo
	v_mul_f32_e32 v8, v15, v8
	s_delay_alu instid0(VALU_DEP_1) | instskip(SKIP_1) | instid1(VALU_DEP_2)
	v_rndne_f32_e32 v22, v8
	v_bfrev_b32_e32 v8, -2
	v_cmpx_nle_f32_e32 0x4f000000, v22
	s_cbranch_execz .LBB9_100
; %bb.97:                               ;   in Loop: Header=BB9_64 Depth=1
	v_bfrev_b32_e32 v8, 1
	s_mov_b32 s5, exec_lo
	v_cmpx_nge_f32_e32 0xcf000000, v22
; %bb.98:                               ;   in Loop: Header=BB9_64 Depth=1
	v_cvt_i32_f32_e32 v8, v22
; %bb.99:                               ;   in Loop: Header=BB9_64 Depth=1
	s_or_b32 exec_lo, exec_lo, s5
.LBB9_100:                              ;   in Loop: Header=BB9_64 Depth=1
	s_delay_alu instid0(SALU_CYCLE_1) | instskip(SKIP_2) | instid1(VALU_DEP_1)
	s_or_b32 exec_lo, exec_lo, s0
	v_lshrrev_b32_e32 v1, 16, v1
	s_mov_b32 s0, exec_lo
	v_cvt_f32_f16_e32 v1, v1
	s_delay_alu instid0(VALU_DEP_1) | instskip(NEXT) | instid1(VALU_DEP_1)
	v_mul_f32_e32 v1, v15, v1
	v_rndne_f32_e32 v1, v1
	s_delay_alu instid0(VALU_DEP_1)
	v_cmpx_nle_f32_e32 0x4f000000, v1
	s_cbranch_execz .LBB9_104
; %bb.101:                              ;   in Loop: Header=BB9_64 Depth=1
	v_bfrev_b32_e32 v21, 1
	s_mov_b32 s5, exec_lo
	v_cmpx_nge_f32_e32 0xcf000000, v1
; %bb.102:                              ;   in Loop: Header=BB9_64 Depth=1
	v_cvt_i32_f32_e32 v21, v1
; %bb.103:                              ;   in Loop: Header=BB9_64 Depth=1
	s_or_b32 exec_lo, exec_lo, s5
.LBB9_104:                              ;   in Loop: Header=BB9_64 Depth=1
	s_delay_alu instid0(SALU_CYCLE_1) | instskip(SKIP_3) | instid1(VALU_DEP_2)
	s_or_b32 exec_lo, exec_lo, s0
	v_cvt_f32_f16_e32 v1, v2
	v_bfrev_b32_e32 v22, -2
	s_mov_b32 s0, exec_lo
	v_mul_f32_e32 v1, v15, v1
	s_delay_alu instid0(VALU_DEP_1) | instskip(SKIP_1) | instid1(VALU_DEP_2)
	v_rndne_f32_e32 v23, v1
	v_bfrev_b32_e32 v1, -2
	v_cmpx_nle_f32_e32 0x4f000000, v23
	s_cbranch_execz .LBB9_108
; %bb.105:                              ;   in Loop: Header=BB9_64 Depth=1
	v_bfrev_b32_e32 v1, 1
	s_mov_b32 s5, exec_lo
	v_cmpx_nge_f32_e32 0xcf000000, v23
; %bb.106:                              ;   in Loop: Header=BB9_64 Depth=1
	v_cvt_i32_f32_e32 v1, v23
; %bb.107:                              ;   in Loop: Header=BB9_64 Depth=1
	s_or_b32 exec_lo, exec_lo, s5
.LBB9_108:                              ;   in Loop: Header=BB9_64 Depth=1
	s_delay_alu instid0(SALU_CYCLE_1) | instskip(SKIP_2) | instid1(VALU_DEP_1)
	s_or_b32 exec_lo, exec_lo, s0
	v_lshrrev_b32_e32 v2, 16, v2
	s_mov_b32 s0, exec_lo
	v_cvt_f32_f16_e32 v2, v2
	s_delay_alu instid0(VALU_DEP_1) | instskip(NEXT) | instid1(VALU_DEP_1)
	v_mul_f32_e32 v2, v15, v2
	v_rndne_f32_e32 v2, v2
	s_delay_alu instid0(VALU_DEP_1)
	v_cmpx_nle_f32_e32 0x4f000000, v2
	s_cbranch_execz .LBB9_112
; %bb.109:                              ;   in Loop: Header=BB9_64 Depth=1
	v_bfrev_b32_e32 v22, 1
	s_mov_b32 s5, exec_lo
	v_cmpx_nge_f32_e32 0xcf000000, v2
; %bb.110:                              ;   in Loop: Header=BB9_64 Depth=1
	v_cvt_i32_f32_e32 v22, v2
; %bb.111:                              ;   in Loop: Header=BB9_64 Depth=1
	s_or_b32 exec_lo, exec_lo, s5
.LBB9_112:                              ;   in Loop: Header=BB9_64 Depth=1
	s_delay_alu instid0(SALU_CYCLE_1) | instskip(SKIP_3) | instid1(VALU_DEP_2)
	s_or_b32 exec_lo, exec_lo, s0
	v_cvt_f32_f16_e32 v2, v3
	v_bfrev_b32_e32 v23, -2
	s_mov_b32 s0, exec_lo
	v_mul_f32_e32 v2, v15, v2
	s_delay_alu instid0(VALU_DEP_1) | instskip(SKIP_1) | instid1(VALU_DEP_2)
	v_rndne_f32_e32 v24, v2
	v_bfrev_b32_e32 v2, -2
	v_cmpx_nle_f32_e32 0x4f000000, v24
	s_cbranch_execz .LBB9_116
; %bb.113:                              ;   in Loop: Header=BB9_64 Depth=1
	v_bfrev_b32_e32 v2, 1
	s_mov_b32 s5, exec_lo
	v_cmpx_nge_f32_e32 0xcf000000, v24
; %bb.114:                              ;   in Loop: Header=BB9_64 Depth=1
	v_cvt_i32_f32_e32 v2, v24
; %bb.115:                              ;   in Loop: Header=BB9_64 Depth=1
	s_or_b32 exec_lo, exec_lo, s5
.LBB9_116:                              ;   in Loop: Header=BB9_64 Depth=1
	;; [unrolled: 40-line block ×3, first 2 shown]
	s_delay_alu instid0(SALU_CYCLE_1) | instskip(SKIP_2) | instid1(VALU_DEP_1)
	s_or_b32 exec_lo, exec_lo, s0
	v_lshrrev_b32_e32 v4, 16, v4
	s_mov_b32 s0, exec_lo
	v_cvt_f32_f16_e32 v4, v4
	s_delay_alu instid0(VALU_DEP_1) | instskip(NEXT) | instid1(VALU_DEP_1)
	v_mul_f32_e32 v4, v15, v4
	v_rndne_f32_e32 v4, v4
	s_delay_alu instid0(VALU_DEP_1)
	v_cmpx_nle_f32_e32 0x4f000000, v4
	s_cbranch_execz .LBB9_63
; %bb.125:                              ;   in Loop: Header=BB9_64 Depth=1
	v_bfrev_b32_e32 v3, 1
	s_mov_b32 s5, exec_lo
	v_cmpx_nge_f32_e32 0xcf000000, v4
	s_cbranch_execz .LBB9_62
; %bb.126:                              ;   in Loop: Header=BB9_64 Depth=1
	v_cvt_i32_f32_e32 v3, v4
	s_branch .LBB9_62
.LBB9_127:
	s_or_b32 exec_lo, exec_lo, s40
	v_lshl_add_u32 v1, s39, 4, v0
	s_mov_b32 s1, exec_lo
	s_delay_alu instid0(VALU_DEP_1)
	v_cmpx_gt_i32_e64 s34, v1
	s_cbranch_execz .LBB9_139
; %bb.128:
	v_cvt_f32_u32_e32 v2, s15
	s_sub_i32 s0, 0, s15
	v_add_nc_u32_e32 v4, s15, v1
	s_cmp_eq_u32 s15, 1
	s_mov_b32 s3, 0
	v_rcp_iflag_f32_e32 v2, v2
	s_delay_alu instid0(VALU_DEP_1) | instskip(SKIP_3) | instid1(VALU_DEP_1)
	v_cmp_gt_i32_e32 vcc_lo, s34, v4
	v_max_i32_e32 v5, s34, v4
	s_waitcnt_depctr 0xfff
	v_mul_f32_e32 v2, 0x4f7ffffe, v2
	v_cvt_u32_f32_e32 v2, v2
	s_delay_alu instid0(VALU_DEP_1) | instskip(SKIP_1) | instid1(VALU_DEP_1)
	v_mul_lo_u32 v3, s0, v2
	v_add_co_ci_u32_e64 v4, s0, s15, v1, vcc_lo
	v_sub_nc_u32_e32 v4, v5, v4
	s_delay_alu instid0(VALU_DEP_3) | instskip(NEXT) | instid1(VALU_DEP_1)
	v_mul_hi_u32 v3, v2, v3
	v_add_nc_u32_e32 v2, v2, v3
	s_delay_alu instid0(VALU_DEP_1) | instskip(NEXT) | instid1(VALU_DEP_1)
	v_mul_hi_u32 v2, v4, v2
	v_mul_lo_u32 v3, v2, s15
	s_delay_alu instid0(VALU_DEP_1) | instskip(SKIP_1) | instid1(VALU_DEP_2)
	v_sub_nc_u32_e32 v3, v4, v3
	v_add_nc_u32_e32 v4, 1, v2
	v_subrev_nc_u32_e32 v5, s15, v3
	v_cmp_le_u32_e64 s0, s15, v3
	s_delay_alu instid0(VALU_DEP_1) | instskip(NEXT) | instid1(VALU_DEP_3)
	v_cndmask_b32_e64 v2, v2, v4, s0
	v_cndmask_b32_e64 v3, v3, v5, s0
	s_delay_alu instid0(VALU_DEP_2) | instskip(NEXT) | instid1(VALU_DEP_2)
	v_add_nc_u32_e32 v4, 1, v2
	v_cmp_le_u32_e64 s0, s15, v3
	s_delay_alu instid0(VALU_DEP_1) | instskip(SKIP_1) | instid1(VALU_DEP_1)
	v_cndmask_b32_e64 v2, v2, v4, s0
	s_cselect_b32 s0, -1, 0
	v_add_co_ci_u32_e32 v4, vcc_lo, 1, v2, vcc_lo
	s_delay_alu instid0(VALU_DEP_1)
	v_cmp_lt_u32_e32 vcc_lo, 1, v4
	s_and_b32 s4, vcc_lo, s0
	s_mov_b32 s0, -1
	s_and_saveexec_b32 s2, s4
	s_cbranch_execz .LBB9_132
; %bb.129:
	v_dual_mov_b32 v6, v9 :: v_dual_and_b32 v5, -2, v4
	v_mov_b32_e32 v2, v1
	s_movk_i32 s4, 0xff80
	s_delay_alu instid0(VALU_DEP_2)
	v_mov_b32_e32 v7, v5
.LBB9_130:                              ; =>This Inner Loop Header: Depth=1
	s_delay_alu instid0(VALU_DEP_2) | instskip(NEXT) | instid1(VALU_DEP_2)
	v_ashrrev_i32_e32 v3, 31, v2
	v_add_nc_u32_e32 v7, -2, v7
	s_delay_alu instid0(VALU_DEP_2) | instskip(NEXT) | instid1(VALU_DEP_1)
	v_lshlrev_b64 v[10:11], 1, v[2:3]
	v_add_co_u32 v10, vcc_lo, s35, v10
	s_delay_alu instid0(VALU_DEP_2) | instskip(SKIP_4) | instid1(VALU_DEP_2)
	v_add_co_ci_u32_e32 v11, vcc_lo, s36, v11, vcc_lo
	global_load_b32 v8, v[10:11], off
	s_waitcnt vmcnt(0)
	v_lshrrev_b32_e32 v10, 16, v8
	v_cvt_f32_f16_e32 v8, v8
	v_cvt_f32_f16_e32 v10, v10
	s_delay_alu instid0(VALU_DEP_2) | instskip(NEXT) | instid1(VALU_DEP_1)
	v_mul_f32_e32 v8, v15, v8
	v_rndne_f32_e32 v8, v8
	s_delay_alu instid0(VALU_DEP_1) | instskip(NEXT) | instid1(VALU_DEP_4)
	v_cmp_nge_f32_e32 vcc_lo, 0xcf000000, v8
	v_dual_mul_f32 v10, v15, v10 :: v_dual_cndmask_b32 v11, 0xcf000000, v8
	s_delay_alu instid0(VALU_DEP_1) | instskip(NEXT) | instid1(VALU_DEP_2)
	v_rndne_f32_e32 v10, v10
	v_cvt_i32_f32_e32 v11, v11
	s_delay_alu instid0(VALU_DEP_2) | instskip(SKIP_2) | instid1(VALU_DEP_2)
	v_cmp_nge_f32_e32 vcc_lo, 0xcf000000, v10
	v_cndmask_b32_e32 v12, 0xcf000000, v10, vcc_lo
	v_cmp_nle_f32_e32 vcc_lo, 0x4f000000, v8
	v_cvt_i32_f32_e32 v12, v12
	v_cndmask_b32_e32 v8, 0x7fffffff, v11, vcc_lo
	v_cmp_nle_f32_e32 vcc_lo, 0x4f000000, v10
	s_delay_alu instid0(VALU_DEP_2) | instskip(NEXT) | instid1(VALU_DEP_4)
	v_add_nc_u32_e32 v8, v8, v9
	v_cndmask_b32_e32 v10, 0x7fffffff, v12, vcc_lo
	v_cmp_eq_u32_e32 vcc_lo, 0, v7
	s_delay_alu instid0(VALU_DEP_3) | instskip(NEXT) | instid1(VALU_DEP_3)
	v_med3_i32 v8, v8, s4, 0x7f
	v_add_nc_u32_e32 v10, v10, v6
	s_or_b32 s3, vcc_lo, s3
	s_delay_alu instid0(VALU_DEP_2) | instskip(NEXT) | instid1(VALU_DEP_2)
	v_and_b32_e32 v8, 0xff, v8
	v_med3_i32 v10, v10, s4, 0x7f
	s_delay_alu instid0(VALU_DEP_1) | instskip(SKIP_1) | instid1(VALU_DEP_1)
	v_lshlrev_b16 v12, 8, v10
	v_add_co_u32 v10, s0, s37, v2
	v_add_co_ci_u32_e64 v11, s0, s38, v3, s0
	s_delay_alu instid0(VALU_DEP_3)
	v_or_b32_e32 v3, v8, v12
	v_add_nc_u32_e32 v2, 2, v2
	global_store_b16 v[10:11], v3, off
	s_and_not1_b32 exec_lo, exec_lo, s3
	s_cbranch_execnz .LBB9_130
; %bb.131:
	s_or_b32 exec_lo, exec_lo, s3
	v_cmp_ne_u32_e32 vcc_lo, v4, v5
	v_add_nc_u32_e32 v1, v1, v5
	s_or_not1_b32 s0, vcc_lo, exec_lo
.LBB9_132:
	s_or_b32 exec_lo, exec_lo, s2
	s_delay_alu instid0(SALU_CYCLE_1)
	s_and_b32 exec_lo, exec_lo, s0
	s_cbranch_execz .LBB9_139
; %bb.133:
	v_ashrrev_i32_e32 v2, 31, v1
	s_add_u32 s0, s20, s28
	s_addc_u32 s2, s21, s29
	s_add_u32 s0, s16, s0
	s_addc_u32 s2, s17, s2
	v_lshlrev_b64 v[3:4], 1, v[1:2]
	s_lshl_b32 s4, s15, 1
	s_add_u32 s3, s26, s18
	s_mov_b32 s5, 0
	s_movk_i32 s6, 0xff80
	s_delay_alu instid0(VALU_DEP_1)
	v_add_co_u32 v3, vcc_lo, s0, v3
	s_addc_u32 s0, s27, s19
	v_add_co_ci_u32_e32 v4, vcc_lo, s2, v4, vcc_lo
	s_add_u32 s2, s22, s3
	s_addc_u32 s0, s23, s0
	v_add_co_u32 v5, vcc_lo, s2, v1
	v_add_co_ci_u32_e32 v2, vcc_lo, s0, v2, vcc_lo
	s_mov_b64 s[2:3], 0
	s_set_inst_prefetch_distance 0x1
	s_branch .LBB9_136
	.p2align	6
.LBB9_134:                              ;   in Loop: Header=BB9_136 Depth=1
	s_or_b32 exec_lo, exec_lo, s7
.LBB9_135:                              ;   in Loop: Header=BB9_136 Depth=1
	s_delay_alu instid0(SALU_CYCLE_1)
	s_or_b32 exec_lo, exec_lo, s0
	v_add_co_u32 v7, vcc_lo, v5, s2
	s_add_u32 s2, s2, s15
	v_add_nc_u32_e32 v6, v6, v9
	v_add_nc_u32_e32 v10, s2, v1
	v_add_co_ci_u32_e32 v8, vcc_lo, s3, v2, vcc_lo
	v_add_co_u32 v3, s0, v3, s4
	s_delay_alu instid0(VALU_DEP_3)
	v_cmp_le_i32_e32 vcc_lo, s34, v10
	v_med3_i32 v6, v6, s6, 0x7f
	v_add_co_ci_u32_e64 v4, s0, 0, v4, s0
	s_addc_u32 s3, s3, 0
	s_or_b32 s5, vcc_lo, s5
	global_store_b8 v[7:8], v6, off
	s_and_not1_b32 exec_lo, exec_lo, s5
	s_cbranch_execz .LBB9_139
.LBB9_136:                              ; =>This Inner Loop Header: Depth=1
	global_load_u16 v6, v[3:4], off
	s_mov_b32 s0, exec_lo
	s_waitcnt vmcnt(0)
	v_cvt_f32_f16_e32 v6, v6
	s_delay_alu instid0(VALU_DEP_1) | instskip(NEXT) | instid1(VALU_DEP_1)
	v_mul_f32_e32 v6, v15, v6
	v_rndne_f32_e32 v7, v6
	v_bfrev_b32_e32 v6, -2
	s_delay_alu instid0(VALU_DEP_2)
	v_cmpx_nle_f32_e32 0x4f000000, v7
	s_cbranch_execz .LBB9_135
; %bb.137:                              ;   in Loop: Header=BB9_136 Depth=1
	v_bfrev_b32_e32 v6, 1
	s_mov_b32 s7, exec_lo
	v_cmpx_nge_f32_e32 0xcf000000, v7
	s_cbranch_execz .LBB9_134
; %bb.138:                              ;   in Loop: Header=BB9_136 Depth=1
	v_cvt_i32_f32_e32 v6, v7
	s_branch .LBB9_134
.LBB9_139:
	s_set_inst_prefetch_distance 0x2
	s_or_b32 exec_lo, exec_lo, s1
	s_mov_b32 s0, 0
.LBB9_140:
	s_delay_alu instid0(SALU_CYCLE_1)
	s_and_b32 vcc_lo, exec_lo, s0
	s_cbranch_vccz .LBB9_213
; %bb.141:
	s_ashr_i32 s26, s33, 4
	s_mov_b32 s0, exec_lo
	v_cmpx_gt_i32_e64 s26, v0
	s_cbranch_execz .LBB9_213
; %bb.142:
	v_cvt_f32_u32_e32 v1, s15
	s_sub_i32 s0, 0, s15
	v_add_nc_u32_e32 v3, s15, v0
	s_cmp_eq_u32 s15, 1
	s_mov_b32 s28, 0
	v_rcp_iflag_f32_e32 v1, v1
	s_delay_alu instid0(VALU_DEP_1) | instskip(SKIP_3) | instid1(VALU_DEP_1)
	v_cmp_gt_i32_e32 vcc_lo, s26, v3
	v_max_i32_e32 v4, s26, v3
	s_waitcnt_depctr 0xfff
	v_mul_f32_e32 v1, 0x4f7ffffe, v1
	v_cvt_u32_f32_e32 v1, v1
	s_delay_alu instid0(VALU_DEP_1) | instskip(SKIP_1) | instid1(VALU_DEP_1)
	v_mul_lo_u32 v2, s0, v1
	v_add_co_ci_u32_e64 v3, s0, s15, v0, vcc_lo
	v_sub_nc_u32_e32 v3, v4, v3
	s_delay_alu instid0(VALU_DEP_3) | instskip(NEXT) | instid1(VALU_DEP_1)
	v_mul_hi_u32 v2, v1, v2
	v_add_nc_u32_e32 v1, v1, v2
	s_delay_alu instid0(VALU_DEP_1) | instskip(NEXT) | instid1(VALU_DEP_1)
	v_mul_hi_u32 v1, v3, v1
	v_mul_lo_u32 v2, v1, s15
	s_delay_alu instid0(VALU_DEP_1) | instskip(SKIP_1) | instid1(VALU_DEP_2)
	v_sub_nc_u32_e32 v2, v3, v2
	v_add_nc_u32_e32 v3, 1, v1
	v_subrev_nc_u32_e32 v4, s15, v2
	v_cmp_le_u32_e64 s0, s15, v2
	s_delay_alu instid0(VALU_DEP_1) | instskip(NEXT) | instid1(VALU_DEP_3)
	v_cndmask_b32_e64 v1, v1, v3, s0
	v_cndmask_b32_e64 v2, v2, v4, s0
	s_delay_alu instid0(VALU_DEP_2) | instskip(NEXT) | instid1(VALU_DEP_2)
	v_add_nc_u32_e32 v3, 1, v1
	v_cmp_le_u32_e64 s0, s15, v2
	s_delay_alu instid0(VALU_DEP_1) | instskip(SKIP_1) | instid1(VALU_DEP_1)
	v_cndmask_b32_e64 v1, v1, v3, s0
	s_cselect_b32 s0, -1, 0
	v_add_co_ci_u32_e32 v10, vcc_lo, 1, v1, vcc_lo
	s_delay_alu instid0(VALU_DEP_1)
	v_cmp_lt_u32_e32 vcc_lo, 1, v10
	s_and_b32 s1, vcc_lo, s0
	s_mov_b32 s0, -1
	s_and_saveexec_b32 s27, s1
	s_cbranch_execz .LBB9_146
; %bb.143:
	v_dual_mov_b32 v12, v9 :: v_dual_and_b32 v11, -2, v10
	v_dual_mov_b32 v2, 0 :: v_dual_add_nc_u32 v1, 1, v0
	s_movk_i32 s29, 0xff80
	s_delay_alu instid0(VALU_DEP_1)
	v_dual_mov_b32 v13, v11 :: v_dual_mov_b32 v4, v1
	v_mov_b32_e32 v3, v0
.LBB9_144:                              ; =>This Inner Loop Header: Depth=1
	s_delay_alu instid0(VALU_DEP_1) | instskip(NEXT) | instid1(VALU_DEP_3)
	v_dual_mov_b32 v1, v3 :: v_dual_mov_b32 v6, v2
	v_add_nc_u32_e32 v13, -2, v13
	s_delay_alu instid0(VALU_DEP_4) | instskip(NEXT) | instid1(VALU_DEP_3)
	v_dual_mov_b32 v5, v4 :: v_dual_add_nc_u32 v4, 2, v4
	v_lshlrev_b64 v[7:8], 5, v[1:2]
	v_lshlrev_b64 v[18:19], 4, v[1:2]
	s_delay_alu instid0(VALU_DEP_4) | instskip(NEXT) | instid1(VALU_DEP_4)
	v_cmp_eq_u32_e32 vcc_lo, 0, v13
	v_lshlrev_b64 v[16:17], 5, v[5:6]
	v_lshlrev_b64 v[20:21], 4, v[5:6]
	s_or_b32 s28, vcc_lo, s28
	v_add_co_u32 v24, vcc_lo, s30, v7
	v_add_co_ci_u32_e32 v25, vcc_lo, s31, v8, vcc_lo
	s_delay_alu instid0(VALU_DEP_4)
	v_add_co_u32 v28, vcc_lo, s30, v16
	v_add_co_ci_u32_e32 v29, vcc_lo, s31, v17, vcc_lo
	v_add_co_u32 v5, vcc_lo, s24, v18
	v_add_co_ci_u32_e32 v6, vcc_lo, s25, v19, vcc_lo
	;; [unrolled: 2-line block ×3, first 2 shown]
	s_clause 0x3
	global_load_b128 v[16:19], v[24:25], off
	global_load_b128 v[20:23], v[28:29], off
	global_load_b128 v[24:27], v[24:25], off offset:16
	global_load_b128 v[28:31], v[28:29], off offset:16
	s_waitcnt vmcnt(3)
	v_lshrrev_b32_e32 v1, 16, v16
	v_cvt_f32_f16_e32 v16, v16
	v_add_nc_u32_e32 v3, 2, v3
	s_waitcnt vmcnt(2)
	v_lshrrev_b32_e32 v35, 16, v21
	v_cvt_f32_f16_e32 v21, v21
	v_lshrrev_b32_e32 v32, 16, v18
	v_mul_f32_e32 v16, v15, v16
	v_lshrrev_b32_e32 v34, 16, v20
	v_cvt_f32_f16_e32 v20, v20
	v_cvt_f32_f16_e32 v18, v18
	v_lshrrev_b32_e32 v14, 16, v17
	v_rndne_f32_e32 v16, v16
	v_cvt_f32_f16_e32 v17, v17
	v_mul_f32_e32 v20, v15, v20
	v_lshrrev_b32_e32 v36, 16, v22
	v_lshrrev_b32_e32 v37, 16, v23
	v_cmp_nge_f32_e32 vcc_lo, 0xcf000000, v16
	v_mul_f32_e32 v21, v15, v21
	v_rndne_f32_e32 v20, v20
	v_cvt_f32_f16_e32 v22, v22
	v_cvt_f32_f16_e32 v23, v23
	v_cndmask_b32_e32 v46, 0xcf000000, v16, vcc_lo
	v_rndne_f32_e32 v21, v21
	v_mul_f32_e32 v18, v15, v18
	v_cmp_nge_f32_e32 vcc_lo, 0xcf000000, v20
	s_waitcnt vmcnt(1)
	v_lshrrev_b32_e32 v38, 16, v24
	v_cvt_f32_f16_e32 v24, v24
	v_mul_f32_e32 v22, v15, v22
	v_rndne_f32_e32 v18, v18
	v_cndmask_b32_e32 v47, 0xcf000000, v20, vcc_lo
	v_mul_f32_e32 v17, v15, v17
	v_lshrrev_b32_e32 v33, 16, v19
	v_cvt_f32_f16_e32 v19, v19
	v_rndne_f32_e32 v22, v22
	s_waitcnt vmcnt(0)
	v_lshrrev_b32_e32 v42, 16, v28
	v_rndne_f32_e32 v17, v17
	v_lshrrev_b32_e32 v43, 16, v29
	v_cvt_f32_f16_e32 v28, v28
	v_cvt_f32_f16_e32 v29, v29
	v_lshrrev_b32_e32 v40, 16, v26
	v_cmp_nge_f32_e32 vcc_lo, 0xcf000000, v17
	v_mul_f32_e32 v23, v15, v23
	v_cvt_f32_f16_e32 v26, v26
	v_lshrrev_b32_e32 v39, 16, v25
	v_cvt_f32_f16_e32 v25, v25
	v_cndmask_b32_e32 v48, 0xcf000000, v17, vcc_lo
	v_rndne_f32_e32 v23, v23
	v_mul_f32_e32 v24, v15, v24
	v_cmp_nge_f32_e32 vcc_lo, 0xcf000000, v21
	v_lshrrev_b32_e32 v44, 16, v30
	v_cvt_f32_f16_e32 v30, v30
	v_lshrrev_b32_e32 v45, 16, v31
	v_rndne_f32_e32 v24, v24
	v_mul_f32_e32 v19, v15, v19
	v_cndmask_b32_e32 v49, 0xcf000000, v21, vcc_lo
	v_cmp_nge_f32_e32 vcc_lo, 0xcf000000, v18
	v_cvt_f32_f16_e32 v31, v31
	v_lshrrev_b32_e32 v41, 16, v27
	v_rndne_f32_e32 v19, v19
	v_cvt_f32_f16_e32 v27, v27
	v_cndmask_b32_e32 v50, 0xcf000000, v18, vcc_lo
	v_cmp_nge_f32_e32 vcc_lo, 0xcf000000, v22
	v_mul_f32_e32 v28, v15, v28
	v_cvt_f32_f16_e32 v1, v1
	v_mul_f32_e32 v27, v15, v27
	v_cvt_f32_f16_e32 v36, v36
	v_cndmask_b32_e32 v51, 0xcf000000, v22, vcc_lo
	v_cmp_nge_f32_e32 vcc_lo, 0xcf000000, v19
	v_mul_f32_e32 v29, v15, v29
	v_rndne_f32_e32 v28, v28
	v_rndne_f32_e32 v27, v27
	v_cvt_f32_f16_e32 v34, v34
	v_cndmask_b32_e32 v52, 0xcf000000, v19, vcc_lo
	v_rndne_f32_e32 v29, v29
	v_mul_f32_e32 v26, v15, v26
	v_cmp_nge_f32_e32 vcc_lo, 0xcf000000, v23
	v_cvt_f32_f16_e32 v14, v14
	v_cvt_f32_f16_e32 v32, v32
	v_cvt_f32_f16_e32 v33, v33
	v_rndne_f32_e32 v26, v26
	v_mul_f32_e32 v25, v15, v25
	v_cndmask_b32_e32 v53, 0xcf000000, v23, vcc_lo
	v_cmp_nge_f32_e32 vcc_lo, 0xcf000000, v24
	v_cmp_nle_f32_e64 s1, 0x4f000000, v17
	v_cvt_f32_f16_e32 v35, v35
	v_rndne_f32_e32 v25, v25
	v_cvt_f32_f16_e32 v37, v37
	v_cndmask_b32_e32 v54, 0xcf000000, v24, vcc_lo
	v_cmp_nge_f32_e32 vcc_lo, 0xcf000000, v28
	v_mul_f32_e32 v30, v15, v30
	v_mul_f32_e32 v14, v15, v14
	;; [unrolled: 1-line block ×4, first 2 shown]
	v_cndmask_b32_e32 v55, 0xcf000000, v28, vcc_lo
	v_cmp_nge_f32_e32 vcc_lo, 0xcf000000, v25
	v_mul_f32_e32 v31, v15, v31
	v_rndne_f32_e32 v30, v30
	v_rndne_f32_e32 v14, v14
	;; [unrolled: 1-line block ×3, first 2 shown]
	v_cndmask_b32_e32 v56, 0xcf000000, v25, vcc_lo
	v_cmp_nge_f32_e32 vcc_lo, 0xcf000000, v29
	v_rndne_f32_e32 v31, v31
	v_cvt_i32_f32_e32 v47, v47
	v_rndne_f32_e32 v35, v35
	v_cmp_nge_f32_e64 s2, 0xcf000000, v14
	v_cndmask_b32_e32 v57, 0xcf000000, v29, vcc_lo
	v_cmp_nge_f32_e32 vcc_lo, 0xcf000000, v26
	v_cmp_nge_f32_e64 s6, 0xcf000000, v33
	v_cmp_nle_f32_e64 s3, 0x4f000000, v18
	v_cndmask_b32_e64 v17, 0xcf000000, v14, s2
	v_cmp_nge_f32_e64 s2, 0xcf000000, v35
	v_cndmask_b32_e32 v58, 0xcf000000, v26, vcc_lo
	v_cmp_nge_f32_e32 vcc_lo, 0xcf000000, v30
	v_mul_f32_e32 v36, v15, v36
	v_cmp_nle_f32_e64 s5, 0x4f000000, v19
	v_cndmask_b32_e64 v19, 0xcf000000, v33, s6
	v_cvt_f32_f16_e32 v38, v38
	v_cndmask_b32_e32 v59, 0xcf000000, v30, vcc_lo
	v_cmp_nge_f32_e32 vcc_lo, 0xcf000000, v27
	v_mul_f32_e32 v1, v15, v1
	v_rndne_f32_e32 v36, v36
	v_cvt_i32_f32_e32 v55, v55
	v_cvt_f32_f16_e32 v42, v42
	v_cndmask_b32_e32 v60, 0xcf000000, v27, vcc_lo
	v_rndne_f32_e32 v1, v1
	v_cmp_nge_f32_e32 vcc_lo, 0xcf000000, v31
	v_mul_f32_e32 v34, v15, v34
	v_mul_f32_e32 v42, v15, v42
	v_cvt_f32_f16_e32 v39, v39
	v_cmp_nge_f32_e64 s0, 0xcf000000, v1
	v_cndmask_b32_e32 v61, 0xcf000000, v31, vcc_lo
	v_rndne_f32_e32 v34, v34
	v_cmp_nle_f32_e32 vcc_lo, 0x4f000000, v20
	v_cvt_i32_f32_e32 v20, v46
	v_cndmask_b32_e64 v46, 0xcf000000, v1, s0
	v_mul_f32_e32 v37, v15, v37
	v_cmp_nge_f32_e64 s0, 0xcf000000, v34
	v_rndne_f32_e32 v42, v42
	v_cvt_f32_f16_e32 v40, v40
	v_cvt_i32_f32_e32 v53, v53
	v_rndne_f32_e32 v37, v37
	v_cndmask_b32_e64 v62, 0xcf000000, v34, s0
	v_cmp_nle_f32_e64 s0, 0x4f000000, v21
	v_cvt_i32_f32_e32 v21, v48
	v_cndmask_b32_e64 v48, 0xcf000000, v35, s2
	v_cmp_nge_f32_e64 s6, 0xcf000000, v37
	v_cmp_nle_f32_e64 s2, 0x4f000000, v22
	v_cvt_i32_f32_e32 v22, v50
	v_cndmask_b32_e64 v21, 0x7fffffff, v21, s1
	v_mul_f32_e32 v32, v15, v32
	v_cmp_nle_f32_e64 s7, 0x4f000000, v24
	v_cvt_i32_f32_e32 v17, v17
	v_cmp_nle_f32_e64 s1, 0x4f000000, v14
	v_add_nc_u32_e32 v21, v21, v9
	v_rndne_f32_e32 v32, v32
	v_cvt_f32_f16_e32 v43, v43
	v_cvt_f32_f16_e32 v44, v44
	v_cmp_nle_f32_e64 s9, 0x4f000000, v25
	v_cndmask_b32_e64 v14, 0x7fffffff, v22, s3
	v_cmp_nge_f32_e64 s4, 0xcf000000, v32
	v_cmp_nle_f32_e64 s3, 0x4f000000, v32
	v_cndmask_b32_e64 v17, 0x7fffffff, v17, s1
	v_mul_f32_e32 v40, v15, v40
	v_dual_mul_f32 v43, v15, v43 :: v_dual_add_nc_u32 v14, v14, v9
	v_cndmask_b32_e64 v18, 0xcf000000, v32, s4
	v_cmp_nge_f32_e64 s4, 0xcf000000, v36
	v_add_nc_u32_e32 v17, v17, v9
	v_rndne_f32_e32 v40, v40
	v_rndne_f32_e32 v43, v43
	v_cmp_nle_f32_e64 s11, 0x4f000000, v26
	v_cndmask_b32_e64 v50, 0xcf000000, v36, s4
	v_cmp_nle_f32_e64 s4, 0x4f000000, v23
	v_cvt_i32_f32_e32 v23, v52
	v_cndmask_b32_e64 v52, 0xcf000000, v37, s6
	v_cmp_nle_f32_e64 s6, 0x4f000000, v28
	v_cvt_i32_f32_e32 v28, v54
	v_cndmask_b32_e64 v32, 0x7fffffff, v53, s4
	v_cndmask_b32_e64 v23, 0x7fffffff, v23, s5
	v_cmp_nle_f32_e64 s5, 0x4f000000, v33
	v_cndmask_b32_e64 v33, 0x7fffffff, v55, s6
	v_mul_f32_e32 v38, v15, v38
	v_dual_mul_f32 v39, v15, v39 :: v_dual_add_nc_u32 v32, v32, v12
	v_cmp_nge_f32_e64 s12, 0xcf000000, v40
	s_delay_alu instid0(VALU_DEP_4) | instskip(NEXT) | instid1(VALU_DEP_4)
	v_add_nc_u32_e32 v33, v33, v12
	v_rndne_f32_e32 v38, v38
	s_delay_alu instid0(VALU_DEP_4)
	v_rndne_f32_e32 v39, v39
	v_cvt_f32_f16_e32 v41, v41
	v_cndmask_b32_e64 v26, 0xcf000000, v40, s12
	v_cvt_i32_f32_e32 v61, v61
	v_cmp_nge_f32_e64 s8, 0xcf000000, v38
	v_cmp_nge_f32_e64 s10, 0xcf000000, v39
	v_cvt_f32_f16_e32 v45, v45
	v_cvt_i32_f32_e32 v57, v57
	v_cndmask_b32_e64 v28, 0x7fffffff, v28, s7
	v_cndmask_b32_e64 v24, 0xcf000000, v38, s8
	v_cmp_nge_f32_e64 s8, 0xcf000000, v42
	v_cndmask_b32_e64 v25, 0xcf000000, v39, s10
	v_cmp_nge_f32_e64 s10, 0xcf000000, v43
	v_cmp_nle_f32_e64 s7, 0x4f000000, v38
	v_cmp_nle_f32_e64 s13, 0x4f000000, v27
	v_cndmask_b32_e64 v54, 0xcf000000, v42, s8
	v_cmp_nle_f32_e64 s8, 0x4f000000, v29
	v_cvt_i32_f32_e32 v29, v56
	v_cndmask_b32_e64 v56, 0xcf000000, v43, s10
	v_cmp_nle_f32_e64 s10, 0x4f000000, v30
	v_cvt_i32_f32_e32 v30, v58
	v_cndmask_b32_e64 v38, 0x7fffffff, v57, s8
	v_cndmask_b32_e64 v29, 0x7fffffff, v29, s9
	v_mul_f32_e32 v44, v15, v44
	v_mul_f32_e32 v45, v15, v45
	v_cndmask_b32_e64 v30, 0x7fffffff, v30, s11
	v_add_nc_u32_e32 v38, v38, v12
	v_add_nc_u32_e32 v29, v29, v9
	v_rndne_f32_e32 v44, v44
	v_cmp_nle_f32_e64 s11, 0x4f000000, v40
	v_rndne_f32_e32 v45, v45
	v_cvt_i32_f32_e32 v49, v49
	v_cvt_i32_f32_e32 v51, v51
	v_cmp_nge_f32_e64 s12, 0xcf000000, v44
	v_cvt_i32_f32_e32 v59, v59
	v_cvt_i32_f32_e32 v48, v48
	v_cmp_nle_f32_e64 s4, 0x4f000000, v37
	v_cndmask_b32_e64 v22, 0x7fffffff, v51, s2
	v_cndmask_b32_e64 v58, 0xcf000000, v44, s12
	v_cmp_nle_f32_e64 s12, 0x4f000000, v31
	v_cvt_i32_f32_e32 v31, v60
	v_cmp_nle_f32_e64 s2, 0x4f000000, v36
	v_cvt_i32_f32_e32 v36, v52
	v_cvt_i32_f32_e32 v37, v54
	v_cndmask_b32_e64 v40, 0x7fffffff, v61, s12
	v_mul_f32_e32 v41, v15, v41
	v_cmp_nle_f32_e64 s6, 0x4f000000, v42
	v_cvt_i32_f32_e32 v42, v56
	v_cmp_nle_f32_e64 s8, 0x4f000000, v43
	v_add_nc_u32_e32 v40, v40, v12
	v_rndne_f32_e32 v41, v41
	v_cmp_nle_f32_e64 s9, 0x4f000000, v39
	v_cndmask_b32_e64 v39, 0x7fffffff, v59, s10
	v_cvt_i32_f32_e32 v43, v58
	v_cmp_nle_f32_e64 s10, 0x4f000000, v44
	v_cmp_nge_f32_e64 s14, 0xcf000000, v41
	v_cmp_nle_f32_e64 s12, 0x4f000000, v45
	v_cndmask_b32_e64 v36, 0x7fffffff, v36, s4
	v_cndmask_b32_e64 v37, 0x7fffffff, v37, s6
	;; [unrolled: 1-line block ×4, first 2 shown]
	v_cmp_nge_f32_e64 s14, 0xcf000000, v45
	v_cndmask_b32_e64 v43, 0x7fffffff, v43, s10
	v_cvt_i32_f32_e32 v18, v18
	v_cvt_i32_f32_e32 v19, v19
	;; [unrolled: 1-line block ×3, first 2 shown]
	v_cndmask_b32_e64 v60, 0xcf000000, v45, s14
	v_cmp_nle_f32_e64 s14, 0x4f000000, v16
	v_cndmask_b32_e64 v31, 0x7fffffff, v31, s13
	v_cmp_nle_f32_e64 s13, 0x4f000000, v41
	v_add_nc_u32_e32 v22, v22, v12
	v_cvt_i32_f32_e32 v44, v60
	v_cndmask_b32_e64 v16, 0x7fffffff, v20, s14
	v_cndmask_b32_e32 v20, 0x7fffffff, v47, vcc_lo
	v_cvt_i32_f32_e32 v47, v62
	v_cmp_nle_f32_e32 vcc_lo, 0x4f000000, v34
	v_cvt_i32_f32_e32 v34, v46
	v_cndmask_b32_e64 v46, 0x7fffffff, v49, s0
	v_cmp_nle_f32_e64 s0, 0x4f000000, v35
	v_cvt_i32_f32_e32 v35, v50
	v_cmp_nle_f32_e64 s14, 0x4f000000, v1
	v_add_nc_u32_e32 v1, v20, v12
	v_cndmask_b32_e64 v44, 0x7fffffff, v44, s12
	v_cndmask_b32_e64 v45, 0x7fffffff, v48, s0
	v_cndmask_b32_e64 v35, 0x7fffffff, v35, s2
	v_cndmask_b32_e64 v20, 0x7fffffff, v34, s14
	v_dual_cndmask_b32 v34, 0x7fffffff, v47 :: v_dual_add_nc_u32 v41, v46, v12
	v_add_nc_u32_e32 v28, v28, v9
	v_add_nc_u32_e32 v39, v39, v12
	;; [unrolled: 1-line block ×3, first 2 shown]
	s_delay_alu instid0(VALU_DEP_4)
	v_add_nc_u32_e32 v34, v34, v12
	v_add_nc_u32_e32 v35, v35, v12
	;; [unrolled: 1-line block ×8, first 2 shown]
	v_cndmask_b32_e64 v18, 0x7fffffff, v18, s3
	v_cndmask_b32_e64 v19, 0x7fffffff, v19, s5
	v_cndmask_b32_e64 v24, 0x7fffffff, v24, s7
	v_med3_i32 v1, v1, s29, 0x7f
	v_add_nc_u32_e32 v20, v20, v9
	v_med3_i32 v41, v41, s29, 0x7f
	v_med3_i32 v22, v22, s29, 0x7f
	;; [unrolled: 1-line block ×16, first 2 shown]
	v_cvt_i32_f32_e32 v25, v25
	v_med3_i32 v16, v16, s29, 0x7f
	v_cvt_i32_f32_e32 v26, v26
	v_cvt_i32_f32_e32 v27, v27
	v_add_nc_u32_e32 v18, v18, v9
	v_add_nc_u32_e32 v19, v19, v9
	;; [unrolled: 1-line block ×4, first 2 shown]
	v_and_b32_e32 v1, 0xff, v1
	v_med3_i32 v20, v20, s29, 0x7f
	v_and_b32_e32 v41, 0xff, v41
	v_and_b32_e32 v22, 0xff, v22
	;; [unrolled: 1-line block ×7, first 2 shown]
	s_clause 0x1
	global_store_b8 v[5:6], v28, off offset:8
	global_store_b8 v[5:6], v16, off
	v_lshlrev_b16 v16, 8, v34
	v_lshlrev_b16 v28, 8, v45
	;; [unrolled: 1-line block ×8, first 2 shown]
	v_cndmask_b32_e64 v25, 0x7fffffff, v25, s9
	v_med3_i32 v21, v21, s29, 0x7f
	v_cndmask_b32_e64 v26, 0x7fffffff, v26, s11
	v_med3_i32 v17, v17, s29, 0x7f
	v_med3_i32 v14, v14, s29, 0x7f
	v_cndmask_b32_e64 v27, 0x7fffffff, v27, s13
	v_med3_i32 v18, v18, s29, 0x7f
	v_med3_i32 v19, v19, s29, 0x7f
	;; [unrolled: 1-line block ×5, first 2 shown]
	s_clause 0x8
	global_store_b8 v[5:6], v20, off offset:1
	global_store_b8 v[5:6], v21, off offset:2
	;; [unrolled: 1-line block ×9, first 2 shown]
	v_or_b32_e32 v1, v1, v16
	v_or_b32_e32 v14, v41, v28
	;; [unrolled: 1-line block ×8, first 2 shown]
	v_add_nc_u32_e32 v30, v30, v9
	v_add_nc_u32_e32 v25, v25, v9
	;; [unrolled: 1-line block ×5, first 2 shown]
	v_and_b32_e32 v17, 0xffff, v17
	v_lshlrev_b32_e32 v18, 16, v18
	v_and_b32_e32 v22, 0xffff, v19
	v_lshlrev_b32_e32 v20, 16, v20
	;; [unrolled: 2-line block ×4, first 2 shown]
	v_med3_i32 v30, v30, s29, 0x7f
	v_med3_i32 v25, v25, s29, 0x7f
	;; [unrolled: 1-line block ×5, first 2 shown]
	v_or_b32_e32 v19, v17, v18
	v_or_b32_e32 v18, v22, v20
	;; [unrolled: 1-line block ×4, first 2 shown]
	s_clause 0x5
	global_store_b8 v[5:6], v25, off offset:11
	global_store_b8 v[5:6], v30, off offset:12
	;; [unrolled: 1-line block ×5, first 2 shown]
	global_store_b128 v[7:8], v[16:19], off
	s_and_not1_b32 exec_lo, exec_lo, s28
	s_cbranch_execnz .LBB9_144
; %bb.145:
	s_or_b32 exec_lo, exec_lo, s28
	v_cmp_ne_u32_e32 vcc_lo, v10, v11
	v_add_nc_u32_e32 v0, v0, v11
	s_or_not1_b32 s0, vcc_lo, exec_lo
.LBB9_146:
	s_or_b32 exec_lo, exec_lo, s27
	s_delay_alu instid0(SALU_CYCLE_1)
	s_and_b32 exec_lo, exec_lo, s0
	s_cbranch_execz .LBB9_213
; %bb.147:
	v_mov_b32_e32 v1, 0
	s_add_u32 s0, s22, s18
	s_addc_u32 s2, s23, s19
	s_lshl_b32 s1, s15, 4
	s_add_u32 s3, s16, s20
	v_lshlrev_b64 v[2:3], 4, v[0:1]
	v_lshlrev_b64 v[4:5], 5, v[0:1]
	s_addc_u32 s4, s17, s21
	s_delay_alu instid0(VALU_DEP_2) | instskip(NEXT) | instid1(VALU_DEP_3)
	v_add_co_u32 v10, vcc_lo, s0, v2
	v_add_co_ci_u32_e32 v11, vcc_lo, s2, v3, vcc_lo
	s_delay_alu instid0(VALU_DEP_3) | instskip(NEXT) | instid1(VALU_DEP_4)
	v_add_co_u32 v12, vcc_lo, s3, v4
	v_add_co_ci_u32_e32 v13, vcc_lo, s4, v5, vcc_lo
	s_mov_b32 s2, 0
	s_lshl_b32 s3, s15, 5
	s_movk_i32 s4, 0xff80
	s_branch .LBB9_150
.LBB9_148:                              ;   in Loop: Header=BB9_150 Depth=1
	s_or_b32 exec_lo, exec_lo, s5
.LBB9_149:                              ;   in Loop: Header=BB9_150 Depth=1
	s_delay_alu instid0(SALU_CYCLE_1)
	s_or_b32 exec_lo, exec_lo, s0
	v_add_nc_u32_e32 v4, v23, v9
	v_add_nc_u32_e32 v20, v20, v9
	;; [unrolled: 1-line block ×5, first 2 shown]
	v_med3_i32 v4, v4, s4, 0x7f
	v_med3_i32 v20, v20, s4, 0x7f
	;; [unrolled: 1-line block ×4, first 2 shown]
	v_add_nc_u32_e32 v2, v2, v9
	v_add_nc_u32_e32 v21, v21, v9
	;; [unrolled: 1-line block ×9, first 2 shown]
	v_lshlrev_b16 v3, 8, v3
	v_and_b32_e32 v4, 0xff, v4
	v_lshlrev_b16 v20, 8, v20
	v_and_b32_e32 v8, 0xff, v8
	v_add_nc_u32_e32 v14, v14, v9
	v_add_nc_u32_e32 v16, v16, v9
	v_med3_i32 v22, v22, s4, 0x7f
	v_med3_i32 v2, v2, s4, 0x7f
	;; [unrolled: 1-line block ×10, first 2 shown]
	v_or_b32_e32 v3, v4, v3
	v_or_b32_e32 v4, v8, v20
	v_med3_i32 v8, v14, s4, 0x7f
	v_med3_i32 v14, v16, s4, 0x7f
	v_lshlrev_b16 v22, 8, v22
	v_and_b32_e32 v2, 0xff, v2
	v_and_b32_e32 v16, 0xffff, v4
	v_lshlrev_b16 v4, 8, v21
	v_and_b32_e32 v1, 0xff, v1
	v_lshlrev_b16 v18, 8, v18
	;; [unrolled: 2-line block ×5, first 2 shown]
	v_and_b32_e32 v17, 0xff, v17
	v_or_b32_e32 v2, v2, v22
	v_or_b32_e32 v1, v1, v4
	;; [unrolled: 1-line block ×6, first 2 shown]
	v_and_b32_e32 v2, 0xffff, v2
	v_lshlrev_b32_e32 v3, 16, v3
	v_lshlrev_b32_e32 v1, 16, v1
	v_and_b32_e32 v8, 0xffff, v4
	v_lshlrev_b32_e32 v6, 16, v6
	v_and_b32_e32 v7, 0xffff, v7
	v_lshlrev_b32_e32 v5, 16, v5
	v_or_b32_e32 v4, v2, v3
	v_or_b32_e32 v3, v16, v1
	;; [unrolled: 1-line block ×3, first 2 shown]
	v_add_nc_u32_e32 v0, s15, v0
	v_or_b32_e32 v1, v7, v5
	v_add_co_u32 v12, s0, v12, s3
	s_delay_alu instid0(VALU_DEP_1)
	v_add_co_ci_u32_e64 v13, s0, 0, v13, s0
	global_store_b128 v[10:11], v[1:4], off
	v_add_co_u32 v10, vcc_lo, v10, s1
	v_add_co_ci_u32_e32 v11, vcc_lo, 0, v11, vcc_lo
	v_cmp_le_i32_e32 vcc_lo, s26, v0
	s_or_b32 s2, vcc_lo, s2
	s_delay_alu instid0(SALU_CYCLE_1)
	s_and_not1_b32 exec_lo, exec_lo, s2
	s_cbranch_execz .LBB9_213
.LBB9_150:                              ; =>This Inner Loop Header: Depth=1
	s_clause 0x1
	global_load_b128 v[5:8], v[12:13], off
	global_load_b128 v[1:4], v[12:13], off offset:16
	v_bfrev_b32_e32 v16, -2
	s_mov_b32 s0, exec_lo
	s_waitcnt vmcnt(1)
	v_cvt_f32_f16_e32 v14, v5
	s_delay_alu instid0(VALU_DEP_1) | instskip(NEXT) | instid1(VALU_DEP_1)
	v_mul_f32_e32 v14, v15, v14
	v_rndne_f32_e32 v17, v14
	v_bfrev_b32_e32 v14, -2
	s_delay_alu instid0(VALU_DEP_2)
	v_cmpx_nle_f32_e32 0x4f000000, v17
	s_cbranch_execz .LBB9_154
; %bb.151:                              ;   in Loop: Header=BB9_150 Depth=1
	v_bfrev_b32_e32 v16, 1
	s_mov_b32 s5, exec_lo
	v_cmpx_nge_f32_e32 0xcf000000, v17
; %bb.152:                              ;   in Loop: Header=BB9_150 Depth=1
	v_cvt_i32_f32_e32 v16, v17
; %bb.153:                              ;   in Loop: Header=BB9_150 Depth=1
	s_or_b32 exec_lo, exec_lo, s5
.LBB9_154:                              ;   in Loop: Header=BB9_150 Depth=1
	s_delay_alu instid0(SALU_CYCLE_1) | instskip(SKIP_2) | instid1(VALU_DEP_1)
	s_or_b32 exec_lo, exec_lo, s0
	v_lshrrev_b32_e32 v5, 16, v5
	s_mov_b32 s0, exec_lo
	v_cvt_f32_f16_e32 v5, v5
	s_delay_alu instid0(VALU_DEP_1) | instskip(NEXT) | instid1(VALU_DEP_1)
	v_mul_f32_e32 v5, v15, v5
	v_rndne_f32_e32 v5, v5
	s_delay_alu instid0(VALU_DEP_1)
	v_cmpx_nle_f32_e32 0x4f000000, v5
	s_cbranch_execz .LBB9_158
; %bb.155:                              ;   in Loop: Header=BB9_150 Depth=1
	v_bfrev_b32_e32 v14, 1
	s_mov_b32 s5, exec_lo
	v_cmpx_nge_f32_e32 0xcf000000, v5
; %bb.156:                              ;   in Loop: Header=BB9_150 Depth=1
	v_cvt_i32_f32_e32 v14, v5
; %bb.157:                              ;   in Loop: Header=BB9_150 Depth=1
	s_or_b32 exec_lo, exec_lo, s5
.LBB9_158:                              ;   in Loop: Header=BB9_150 Depth=1
	s_delay_alu instid0(SALU_CYCLE_1) | instskip(SKIP_3) | instid1(VALU_DEP_2)
	s_or_b32 exec_lo, exec_lo, s0
	v_cvt_f32_f16_e32 v5, v6
	v_bfrev_b32_e32 v17, -2
	s_mov_b32 s0, exec_lo
	v_mul_f32_e32 v5, v15, v5
	s_delay_alu instid0(VALU_DEP_1) | instskip(SKIP_1) | instid1(VALU_DEP_2)
	v_rndne_f32_e32 v18, v5
	v_bfrev_b32_e32 v5, -2
	v_cmpx_nle_f32_e32 0x4f000000, v18
	s_cbranch_execz .LBB9_162
; %bb.159:                              ;   in Loop: Header=BB9_150 Depth=1
	v_bfrev_b32_e32 v17, 1
	s_mov_b32 s5, exec_lo
	v_cmpx_nge_f32_e32 0xcf000000, v18
; %bb.160:                              ;   in Loop: Header=BB9_150 Depth=1
	v_cvt_i32_f32_e32 v17, v18
; %bb.161:                              ;   in Loop: Header=BB9_150 Depth=1
	s_or_b32 exec_lo, exec_lo, s5
.LBB9_162:                              ;   in Loop: Header=BB9_150 Depth=1
	s_delay_alu instid0(SALU_CYCLE_1) | instskip(SKIP_2) | instid1(VALU_DEP_1)
	s_or_b32 exec_lo, exec_lo, s0
	v_lshrrev_b32_e32 v6, 16, v6
	s_mov_b32 s0, exec_lo
	v_cvt_f32_f16_e32 v6, v6
	s_delay_alu instid0(VALU_DEP_1) | instskip(NEXT) | instid1(VALU_DEP_1)
	v_mul_f32_e32 v6, v15, v6
	v_rndne_f32_e32 v6, v6
	s_delay_alu instid0(VALU_DEP_1)
	v_cmpx_nle_f32_e32 0x4f000000, v6
	s_cbranch_execz .LBB9_166
; %bb.163:                              ;   in Loop: Header=BB9_150 Depth=1
	v_bfrev_b32_e32 v5, 1
	s_mov_b32 s5, exec_lo
	v_cmpx_nge_f32_e32 0xcf000000, v6
; %bb.164:                              ;   in Loop: Header=BB9_150 Depth=1
	v_cvt_i32_f32_e32 v5, v6
; %bb.165:                              ;   in Loop: Header=BB9_150 Depth=1
	s_or_b32 exec_lo, exec_lo, s5
.LBB9_166:                              ;   in Loop: Header=BB9_150 Depth=1
	s_delay_alu instid0(SALU_CYCLE_1) | instskip(SKIP_3) | instid1(VALU_DEP_2)
	s_or_b32 exec_lo, exec_lo, s0
	v_cvt_f32_f16_e32 v6, v7
	v_bfrev_b32_e32 v18, -2
	s_mov_b32 s0, exec_lo
	v_mul_f32_e32 v6, v15, v6
	s_delay_alu instid0(VALU_DEP_1) | instskip(SKIP_1) | instid1(VALU_DEP_2)
	v_rndne_f32_e32 v19, v6
	v_bfrev_b32_e32 v6, -2
	;; [unrolled: 40-line block ×3, first 2 shown]
	v_cmpx_nle_f32_e32 0x4f000000, v20
	s_cbranch_execz .LBB9_178
; %bb.175:                              ;   in Loop: Header=BB9_150 Depth=1
	v_bfrev_b32_e32 v7, 1
	s_mov_b32 s5, exec_lo
	v_cmpx_nge_f32_e32 0xcf000000, v20
; %bb.176:                              ;   in Loop: Header=BB9_150 Depth=1
	v_cvt_i32_f32_e32 v7, v20
; %bb.177:                              ;   in Loop: Header=BB9_150 Depth=1
	s_or_b32 exec_lo, exec_lo, s5
.LBB9_178:                              ;   in Loop: Header=BB9_150 Depth=1
	s_delay_alu instid0(SALU_CYCLE_1) | instskip(SKIP_2) | instid1(VALU_DEP_1)
	s_or_b32 exec_lo, exec_lo, s0
	v_lshrrev_b32_e32 v8, 16, v8
	s_mov_b32 s0, exec_lo
	v_cvt_f32_f16_e32 v8, v8
	s_delay_alu instid0(VALU_DEP_1) | instskip(NEXT) | instid1(VALU_DEP_1)
	v_mul_f32_e32 v8, v15, v8
	v_rndne_f32_e32 v8, v8
	s_delay_alu instid0(VALU_DEP_1)
	v_cmpx_nle_f32_e32 0x4f000000, v8
	s_cbranch_execz .LBB9_182
; %bb.179:                              ;   in Loop: Header=BB9_150 Depth=1
	v_bfrev_b32_e32 v19, 1
	s_mov_b32 s5, exec_lo
	v_cmpx_nge_f32_e32 0xcf000000, v8
; %bb.180:                              ;   in Loop: Header=BB9_150 Depth=1
	v_cvt_i32_f32_e32 v19, v8
; %bb.181:                              ;   in Loop: Header=BB9_150 Depth=1
	s_or_b32 exec_lo, exec_lo, s5
.LBB9_182:                              ;   in Loop: Header=BB9_150 Depth=1
	s_delay_alu instid0(SALU_CYCLE_1) | instskip(SKIP_4) | instid1(VALU_DEP_2)
	s_or_b32 exec_lo, exec_lo, s0
	s_waitcnt vmcnt(0)
	v_cvt_f32_f16_e32 v8, v1
	v_bfrev_b32_e32 v20, -2
	s_mov_b32 s0, exec_lo
	v_mul_f32_e32 v8, v15, v8
	s_delay_alu instid0(VALU_DEP_1) | instskip(SKIP_1) | instid1(VALU_DEP_2)
	v_rndne_f32_e32 v21, v8
	v_bfrev_b32_e32 v8, -2
	v_cmpx_nle_f32_e32 0x4f000000, v21
	s_cbranch_execz .LBB9_186
; %bb.183:                              ;   in Loop: Header=BB9_150 Depth=1
	v_bfrev_b32_e32 v8, 1
	s_mov_b32 s5, exec_lo
	v_cmpx_nge_f32_e32 0xcf000000, v21
; %bb.184:                              ;   in Loop: Header=BB9_150 Depth=1
	v_cvt_i32_f32_e32 v8, v21
; %bb.185:                              ;   in Loop: Header=BB9_150 Depth=1
	s_or_b32 exec_lo, exec_lo, s5
.LBB9_186:                              ;   in Loop: Header=BB9_150 Depth=1
	s_delay_alu instid0(SALU_CYCLE_1) | instskip(SKIP_2) | instid1(VALU_DEP_1)
	s_or_b32 exec_lo, exec_lo, s0
	v_lshrrev_b32_e32 v1, 16, v1
	s_mov_b32 s0, exec_lo
	v_cvt_f32_f16_e32 v1, v1
	s_delay_alu instid0(VALU_DEP_1) | instskip(NEXT) | instid1(VALU_DEP_1)
	v_mul_f32_e32 v1, v15, v1
	v_rndne_f32_e32 v1, v1
	s_delay_alu instid0(VALU_DEP_1)
	v_cmpx_nle_f32_e32 0x4f000000, v1
	s_cbranch_execz .LBB9_190
; %bb.187:                              ;   in Loop: Header=BB9_150 Depth=1
	v_bfrev_b32_e32 v20, 1
	s_mov_b32 s5, exec_lo
	v_cmpx_nge_f32_e32 0xcf000000, v1
; %bb.188:                              ;   in Loop: Header=BB9_150 Depth=1
	v_cvt_i32_f32_e32 v20, v1
; %bb.189:                              ;   in Loop: Header=BB9_150 Depth=1
	s_or_b32 exec_lo, exec_lo, s5
.LBB9_190:                              ;   in Loop: Header=BB9_150 Depth=1
	s_delay_alu instid0(SALU_CYCLE_1) | instskip(SKIP_3) | instid1(VALU_DEP_2)
	s_or_b32 exec_lo, exec_lo, s0
	v_cvt_f32_f16_e32 v1, v2
	v_bfrev_b32_e32 v21, -2
	s_mov_b32 s0, exec_lo
	v_mul_f32_e32 v1, v15, v1
	s_delay_alu instid0(VALU_DEP_1) | instskip(SKIP_1) | instid1(VALU_DEP_2)
	v_rndne_f32_e32 v22, v1
	v_bfrev_b32_e32 v1, -2
	v_cmpx_nle_f32_e32 0x4f000000, v22
	s_cbranch_execz .LBB9_194
; %bb.191:                              ;   in Loop: Header=BB9_150 Depth=1
	v_bfrev_b32_e32 v1, 1
	s_mov_b32 s5, exec_lo
	v_cmpx_nge_f32_e32 0xcf000000, v22
; %bb.192:                              ;   in Loop: Header=BB9_150 Depth=1
	v_cvt_i32_f32_e32 v1, v22
; %bb.193:                              ;   in Loop: Header=BB9_150 Depth=1
	s_or_b32 exec_lo, exec_lo, s5
.LBB9_194:                              ;   in Loop: Header=BB9_150 Depth=1
	s_delay_alu instid0(SALU_CYCLE_1) | instskip(SKIP_2) | instid1(VALU_DEP_1)
	s_or_b32 exec_lo, exec_lo, s0
	v_lshrrev_b32_e32 v2, 16, v2
	s_mov_b32 s0, exec_lo
	v_cvt_f32_f16_e32 v2, v2
	s_delay_alu instid0(VALU_DEP_1) | instskip(NEXT) | instid1(VALU_DEP_1)
	v_mul_f32_e32 v2, v15, v2
	v_rndne_f32_e32 v2, v2
	s_delay_alu instid0(VALU_DEP_1)
	v_cmpx_nle_f32_e32 0x4f000000, v2
	s_cbranch_execz .LBB9_198
; %bb.195:                              ;   in Loop: Header=BB9_150 Depth=1
	v_bfrev_b32_e32 v21, 1
	s_mov_b32 s5, exec_lo
	v_cmpx_nge_f32_e32 0xcf000000, v2
; %bb.196:                              ;   in Loop: Header=BB9_150 Depth=1
	v_cvt_i32_f32_e32 v21, v2
; %bb.197:                              ;   in Loop: Header=BB9_150 Depth=1
	s_or_b32 exec_lo, exec_lo, s5
.LBB9_198:                              ;   in Loop: Header=BB9_150 Depth=1
	s_delay_alu instid0(SALU_CYCLE_1) | instskip(SKIP_3) | instid1(VALU_DEP_2)
	s_or_b32 exec_lo, exec_lo, s0
	;; [unrolled: 40-line block ×3, first 2 shown]
	v_cvt_f32_f16_e32 v3, v4
	v_bfrev_b32_e32 v23, -2
	s_mov_b32 s0, exec_lo
	v_mul_f32_e32 v3, v15, v3
	s_delay_alu instid0(VALU_DEP_1) | instskip(SKIP_1) | instid1(VALU_DEP_2)
	v_rndne_f32_e32 v24, v3
	v_bfrev_b32_e32 v3, -2
	v_cmpx_nle_f32_e32 0x4f000000, v24
	s_cbranch_execz .LBB9_210
; %bb.207:                              ;   in Loop: Header=BB9_150 Depth=1
	v_bfrev_b32_e32 v23, 1
	s_mov_b32 s5, exec_lo
	v_cmpx_nge_f32_e32 0xcf000000, v24
; %bb.208:                              ;   in Loop: Header=BB9_150 Depth=1
	v_cvt_i32_f32_e32 v23, v24
; %bb.209:                              ;   in Loop: Header=BB9_150 Depth=1
	s_or_b32 exec_lo, exec_lo, s5
.LBB9_210:                              ;   in Loop: Header=BB9_150 Depth=1
	s_delay_alu instid0(SALU_CYCLE_1) | instskip(SKIP_2) | instid1(VALU_DEP_1)
	s_or_b32 exec_lo, exec_lo, s0
	v_lshrrev_b32_e32 v4, 16, v4
	s_mov_b32 s0, exec_lo
	v_cvt_f32_f16_e32 v4, v4
	s_delay_alu instid0(VALU_DEP_1) | instskip(NEXT) | instid1(VALU_DEP_1)
	v_mul_f32_e32 v4, v15, v4
	v_rndne_f32_e32 v4, v4
	s_delay_alu instid0(VALU_DEP_1)
	v_cmpx_nle_f32_e32 0x4f000000, v4
	s_cbranch_execz .LBB9_149
; %bb.211:                              ;   in Loop: Header=BB9_150 Depth=1
	v_bfrev_b32_e32 v3, 1
	s_mov_b32 s5, exec_lo
	v_cmpx_nge_f32_e32 0xcf000000, v4
	s_cbranch_execz .LBB9_148
; %bb.212:                              ;   in Loop: Header=BB9_150 Depth=1
	v_cvt_i32_f32_e32 v3, v4
	s_branch .LBB9_148
.LBB9_213:
	s_nop 0
	s_sendmsg sendmsg(MSG_DEALLOC_VGPRS)
	s_endpgm
	.section	.rodata,"a",@progbits
	.p2align	6, 0x0
	.amdhsa_kernel _ZN4vllm36dynamic_scaled_int8_azp_quant_kernelIN3c104HalfEfiEEvPKT_PaPT0_PT1_i
		.amdhsa_group_segment_fixed_size 72
		.amdhsa_private_segment_fixed_size 0
		.amdhsa_kernarg_size 296
		.amdhsa_user_sgpr_count 15
		.amdhsa_user_sgpr_dispatch_ptr 0
		.amdhsa_user_sgpr_queue_ptr 0
		.amdhsa_user_sgpr_kernarg_segment_ptr 1
		.amdhsa_user_sgpr_dispatch_id 0
		.amdhsa_user_sgpr_private_segment_size 0
		.amdhsa_wavefront_size32 1
		.amdhsa_uses_dynamic_stack 0
		.amdhsa_enable_private_segment 0
		.amdhsa_system_sgpr_workgroup_id_x 1
		.amdhsa_system_sgpr_workgroup_id_y 0
		.amdhsa_system_sgpr_workgroup_id_z 0
		.amdhsa_system_sgpr_workgroup_info 0
		.amdhsa_system_vgpr_workitem_id 0
		.amdhsa_next_free_vgpr 63
		.amdhsa_next_free_sgpr 44
		.amdhsa_reserve_vcc 1
		.amdhsa_float_round_mode_32 0
		.amdhsa_float_round_mode_16_64 0
		.amdhsa_float_denorm_mode_32 3
		.amdhsa_float_denorm_mode_16_64 3
		.amdhsa_dx10_clamp 1
		.amdhsa_ieee_mode 1
		.amdhsa_fp16_overflow 0
		.amdhsa_workgroup_processor_mode 1
		.amdhsa_memory_ordered 1
		.amdhsa_forward_progress 0
		.amdhsa_shared_vgpr_count 0
		.amdhsa_exception_fp_ieee_invalid_op 0
		.amdhsa_exception_fp_denorm_src 0
		.amdhsa_exception_fp_ieee_div_zero 0
		.amdhsa_exception_fp_ieee_overflow 0
		.amdhsa_exception_fp_ieee_underflow 0
		.amdhsa_exception_fp_ieee_inexact 0
		.amdhsa_exception_int_div_zero 0
	.end_amdhsa_kernel
	.section	.text._ZN4vllm36dynamic_scaled_int8_azp_quant_kernelIN3c104HalfEfiEEvPKT_PaPT0_PT1_i,"axG",@progbits,_ZN4vllm36dynamic_scaled_int8_azp_quant_kernelIN3c104HalfEfiEEvPKT_PaPT0_PT1_i,comdat
.Lfunc_end9:
	.size	_ZN4vllm36dynamic_scaled_int8_azp_quant_kernelIN3c104HalfEfiEEvPKT_PaPT0_PT1_i, .Lfunc_end9-_ZN4vllm36dynamic_scaled_int8_azp_quant_kernelIN3c104HalfEfiEEvPKT_PaPT0_PT1_i
                                        ; -- End function
	.section	.AMDGPU.csdata,"",@progbits
; Kernel info:
; codeLenInByte = 14932
; NumSgprs: 46
; NumVgprs: 63
; ScratchSize: 0
; MemoryBound: 0
; FloatMode: 240
; IeeeMode: 1
; LDSByteSize: 72 bytes/workgroup (compile time only)
; SGPRBlocks: 5
; VGPRBlocks: 7
; NumSGPRsForWavesPerEU: 46
; NumVGPRsForWavesPerEU: 63
; Occupancy: 16
; WaveLimiterHint : 0
; COMPUTE_PGM_RSRC2:SCRATCH_EN: 0
; COMPUTE_PGM_RSRC2:USER_SGPR: 15
; COMPUTE_PGM_RSRC2:TRAP_HANDLER: 0
; COMPUTE_PGM_RSRC2:TGID_X_EN: 1
; COMPUTE_PGM_RSRC2:TGID_Y_EN: 0
; COMPUTE_PGM_RSRC2:TGID_Z_EN: 0
; COMPUTE_PGM_RSRC2:TIDIG_COMP_CNT: 0
	.section	.text._ZN4vllm32dynamic_scaled_int8_quant_kernelIN3c108BFloat16EfEEvPKT_PaPT0_i,"axG",@progbits,_ZN4vllm32dynamic_scaled_int8_quant_kernelIN3c108BFloat16EfEEvPKT_PaPT0_i,comdat
	.protected	_ZN4vllm32dynamic_scaled_int8_quant_kernelIN3c108BFloat16EfEEvPKT_PaPT0_i ; -- Begin function _ZN4vllm32dynamic_scaled_int8_quant_kernelIN3c108BFloat16EfEEvPKT_PaPT0_i
	.globl	_ZN4vllm32dynamic_scaled_int8_quant_kernelIN3c108BFloat16EfEEvPKT_PaPT0_i
	.p2align	8
	.type	_ZN4vllm32dynamic_scaled_int8_quant_kernelIN3c108BFloat16EfEEvPKT_PaPT0_i,@function
_ZN4vllm32dynamic_scaled_int8_quant_kernelIN3c108BFloat16EfEEvPKT_PaPT0_i: ; @_ZN4vllm32dynamic_scaled_int8_quant_kernelIN3c108BFloat16EfEEvPKT_PaPT0_i
; %bb.0:
	s_clause 0x2
	s_load_b32 s29, s[0:1], 0x18
	s_load_b32 s2, s[0:1], 0x2c
	s_load_b64 s[16:17], s[0:1], 0x0
	s_mov_b32 s7, 0
	s_mov_b32 s8, s15
	s_waitcnt lgkmcnt(0)
	s_ashr_i32 s3, s29, 31
	s_mul_hi_u32 s4, s29, s15
	s_mul_i32 s3, s3, s15
	s_mul_i32 s20, s29, s15
	s_add_i32 s21, s4, s3
	s_and_b32 s28, s2, 0xffff
	s_lshl_b64 s[18:19], s[20:21], 1
	s_delay_alu instid0(SALU_CYCLE_1) | instskip(SKIP_2) | instid1(SALU_CYCLE_1)
	s_add_u32 s30, s16, s18
	s_addc_u32 s31, s17, s19
	s_and_b32 s6, s30, 31
	s_cmp_lg_u64 s[6:7], 0
	s_cselect_b32 s2, -1, 0
	s_and_b32 s3, s29, 15
	s_delay_alu instid0(SALU_CYCLE_1) | instskip(SKIP_1) | instid1(SALU_CYCLE_1)
	s_cmp_lg_u32 s3, 0
	s_cselect_b32 s3, -1, 0
	s_or_b32 s10, s3, s2
	s_delay_alu instid0(SALU_CYCLE_1)
	s_and_b32 vcc_lo, exec_lo, s10
	s_cbranch_vccz .LBB10_14
; %bb.1:
	s_sub_i32 s2, 0, s30
	v_mov_b32_e32 v4, 0
	s_bfe_u32 s2, s2, 0x40001
	s_mov_b32 s3, exec_lo
	s_min_i32 s4, s2, s29
	s_delay_alu instid0(SALU_CYCLE_1)
	v_cmpx_gt_i32_e64 s4, v0
	s_cbranch_execz .LBB10_5
; %bb.2:
	v_dual_mov_b32 v4, 0 :: v_dual_lshlrev_b32 v1, 1, v0
	s_add_u32 s2, s16, s18
	s_addc_u32 s5, s17, s19
	v_mov_b32_e32 v3, v0
	s_delay_alu instid0(VALU_DEP_2) | instskip(NEXT) | instid1(VALU_DEP_1)
	v_add_co_u32 v1, s2, s2, v1
	v_add_co_ci_u32_e64 v2, null, s5, 0, s2
	s_mov_b32 s5, 0
	s_lshl_b32 s6, s28, 1
.LBB10_3:                               ; =>This Inner Loop Header: Depth=1
	global_load_u16 v5, v[1:2], off
	v_add_co_u32 v1, vcc_lo, v1, s6
	v_add_co_ci_u32_e32 v2, vcc_lo, 0, v2, vcc_lo
	s_waitcnt vmcnt(0)
	v_dual_max_f32 v4, v4, v4 :: v_dual_lshlrev_b32 v5, 16, v5
	s_delay_alu instid0(VALU_DEP_1) | instskip(NEXT) | instid1(VALU_DEP_1)
	v_max_f32_e64 v5, |v5|, |v5|
	v_dual_max_f32 v4, v4, v5 :: v_dual_add_nc_u32 v3, s28, v3
	s_delay_alu instid0(VALU_DEP_1) | instskip(NEXT) | instid1(VALU_DEP_1)
	v_cmp_le_i32_e64 s2, s4, v3
	s_or_b32 s5, s2, s5
	s_delay_alu instid0(SALU_CYCLE_1)
	s_and_not1_b32 exec_lo, exec_lo, s5
	s_cbranch_execnz .LBB10_3
; %bb.4:
	s_or_b32 exec_lo, exec_lo, s5
.LBB10_5:
	s_delay_alu instid0(SALU_CYCLE_1)
	s_or_b32 exec_lo, exec_lo, s3
	s_sub_i32 s3, s29, s4
	s_ashr_i32 s5, s4, 31
	s_ashr_i32 s2, s3, 31
	s_mov_b32 s9, exec_lo
	s_lshr_b32 s2, s2, 28
	s_delay_alu instid0(SALU_CYCLE_1) | instskip(NEXT) | instid1(SALU_CYCLE_1)
	s_add_i32 s2, s3, s2
	s_ashr_i32 s6, s2, 4
	s_delay_alu instid0(SALU_CYCLE_1)
	v_cmpx_gt_i32_e64 s6, v0
	s_cbranch_execz .LBB10_9
; %bb.6:
	s_lshl_b64 s[12:13], s[4:5], 1
	v_lshlrev_b32_e32 v1, 5, v0
	s_add_u32 s2, s16, s12
	s_addc_u32 s11, s17, s13
	s_add_u32 s2, s2, s18
	s_addc_u32 s11, s11, s19
	v_add_co_u32 v1, s2, s2, v1
	s_delay_alu instid0(VALU_DEP_1)
	v_add_co_ci_u32_e64 v2, null, s11, 0, s2
	v_mov_b32_e32 v3, v0
	s_mov_b32 s11, 0
	s_lshl_b32 s12, s28, 5
.LBB10_7:                               ; =>This Inner Loop Header: Depth=1
	s_clause 0x1
	global_load_b128 v[5:8], v[1:2], off
	global_load_b128 v[9:12], v[1:2], off offset:16
	v_add_nc_u32_e32 v3, s28, v3
	v_add_co_u32 v1, vcc_lo, v1, s12
	v_add_co_ci_u32_e32 v2, vcc_lo, 0, v2, vcc_lo
	s_delay_alu instid0(VALU_DEP_3) | instskip(NEXT) | instid1(VALU_DEP_1)
	v_cmp_le_i32_e64 s2, s6, v3
	s_or_b32 s11, s2, s11
	s_waitcnt vmcnt(1)
	v_lshlrev_b32_e32 v13, 16, v5
	v_and_b32_e32 v5, 0xffff0000, v5
	v_lshlrev_b32_e32 v14, 16, v6
	v_and_b32_e32 v6, 0xffff0000, v6
	s_delay_alu instid0(VALU_DEP_3) | instskip(SKIP_2) | instid1(VALU_DEP_3)
	v_max3_f32 v4, v4, |v13|, |v5|
	v_lshlrev_b32_e32 v5, 16, v7
	v_and_b32_e32 v7, 0xffff0000, v7
	v_max3_f32 v4, v4, |v14|, |v6|
	v_lshlrev_b32_e32 v6, 16, v8
	v_and_b32_e32 v8, 0xffff0000, v8
	s_delay_alu instid0(VALU_DEP_3) | instskip(SKIP_3) | instid1(VALU_DEP_3)
	v_max3_f32 v4, v4, |v5|, |v7|
	s_waitcnt vmcnt(0)
	v_lshlrev_b32_e32 v5, 16, v9
	v_and_b32_e32 v7, 0xffff0000, v9
	v_max3_f32 v4, v4, |v6|, |v8|
	v_lshlrev_b32_e32 v6, 16, v10
	v_and_b32_e32 v8, 0xffff0000, v10
	s_delay_alu instid0(VALU_DEP_3) | instskip(SKIP_2) | instid1(VALU_DEP_3)
	v_max3_f32 v4, v4, |v5|, |v7|
	v_lshlrev_b32_e32 v5, 16, v11
	v_and_b32_e32 v7, 0xffff0000, v11
	v_max3_f32 v4, v4, |v6|, |v8|
	v_lshlrev_b32_e32 v6, 16, v12
	v_and_b32_e32 v8, 0xffff0000, v12
	s_delay_alu instid0(VALU_DEP_3) | instskip(NEXT) | instid1(VALU_DEP_1)
	v_max3_f32 v4, v4, |v5|, |v7|
	v_max3_f32 v4, v4, |v6|, |v8|
	s_and_not1_b32 exec_lo, exec_lo, s11
	s_cbranch_execnz .LBB10_7
; %bb.8:
	s_or_b32 exec_lo, exec_lo, s11
.LBB10_9:
	s_delay_alu instid0(SALU_CYCLE_1) | instskip(SKIP_2) | instid1(VALU_DEP_1)
	s_or_b32 exec_lo, exec_lo, s9
	v_lshl_add_u32 v1, s6, 4, v0
	s_mov_b32 s6, exec_lo
	v_cmpx_gt_i32_e64 s3, v1
	s_cbranch_execz .LBB10_13
; %bb.10:
	v_ashrrev_i32_e32 v2, 31, v1
	s_lshl_b64 s[4:5], s[4:5], 1
	s_delay_alu instid0(SALU_CYCLE_1) | instskip(SKIP_1) | instid1(VALU_DEP_1)
	s_add_u32 s2, s18, s4
	s_addc_u32 s4, s19, s5
	v_lshlrev_b64 v[2:3], 1, v[1:2]
	s_add_u32 s2, s16, s2
	s_addc_u32 s4, s17, s4
	s_lshl_b32 s5, s28, 1
	s_delay_alu instid0(VALU_DEP_1) | instskip(NEXT) | instid1(VALU_DEP_2)
	v_add_co_u32 v2, vcc_lo, s2, v2
	v_add_co_ci_u32_e32 v3, vcc_lo, s4, v3, vcc_lo
	s_mov_b32 s4, 0
.LBB10_11:                              ; =>This Inner Loop Header: Depth=1
	global_load_u16 v5, v[2:3], off
	v_add_nc_u32_e32 v1, s28, v1
	v_add_co_u32 v2, vcc_lo, v2, s5
	v_add_co_ci_u32_e32 v3, vcc_lo, 0, v3, vcc_lo
	s_delay_alu instid0(VALU_DEP_3) | instskip(SKIP_1) | instid1(VALU_DEP_2)
	v_cmp_le_i32_e64 s2, s3, v1
	v_max_f32_e32 v4, v4, v4
	s_or_b32 s4, s2, s4
	s_waitcnt vmcnt(0)
	v_lshlrev_b32_e32 v5, 16, v5
	s_delay_alu instid0(VALU_DEP_1) | instskip(NEXT) | instid1(VALU_DEP_1)
	v_max_f32_e64 v5, |v5|, |v5|
	v_max_f32_e32 v4, v4, v5
	s_and_not1_b32 exec_lo, exec_lo, s4
	s_cbranch_execnz .LBB10_11
; %bb.12:
	s_or_b32 exec_lo, exec_lo, s4
.LBB10_13:
	s_delay_alu instid0(SALU_CYCLE_1)
	s_or_b32 exec_lo, exec_lo, s6
	s_branch .LBB10_20
.LBB10_14:
                                        ; implicit-def: $vgpr4
	s_cbranch_execz .LBB10_20
; %bb.15:
	v_mov_b32_e32 v4, 0
	s_ashr_i32 s4, s29, 4
	s_mov_b32 s3, exec_lo
	v_cmpx_gt_i32_e64 s4, v0
	s_cbranch_execz .LBB10_19
; %bb.16:
	v_dual_mov_b32 v4, 0 :: v_dual_lshlrev_b32 v1, 5, v0
	s_add_u32 s2, s16, s18
	s_addc_u32 s5, s17, s19
	v_mov_b32_e32 v3, v0
	s_delay_alu instid0(VALU_DEP_2) | instskip(NEXT) | instid1(VALU_DEP_1)
	v_add_co_u32 v1, s2, s2, v1
	v_add_co_ci_u32_e64 v2, null, s5, 0, s2
	s_mov_b32 s5, 0
	s_lshl_b32 s6, s28, 5
.LBB10_17:                              ; =>This Inner Loop Header: Depth=1
	s_clause 0x1
	global_load_b128 v[5:8], v[1:2], off
	global_load_b128 v[9:12], v[1:2], off offset:16
	v_add_nc_u32_e32 v3, s28, v3
	v_add_co_u32 v1, vcc_lo, v1, s6
	v_add_co_ci_u32_e32 v2, vcc_lo, 0, v2, vcc_lo
	s_delay_alu instid0(VALU_DEP_3) | instskip(NEXT) | instid1(VALU_DEP_1)
	v_cmp_le_i32_e64 s2, s4, v3
	s_or_b32 s5, s2, s5
	s_waitcnt vmcnt(1)
	v_lshlrev_b32_e32 v13, 16, v5
	v_and_b32_e32 v5, 0xffff0000, v5
	v_lshlrev_b32_e32 v14, 16, v6
	v_and_b32_e32 v6, 0xffff0000, v6
	s_delay_alu instid0(VALU_DEP_3) | instskip(SKIP_2) | instid1(VALU_DEP_3)
	v_max3_f32 v4, v4, |v13|, |v5|
	v_lshlrev_b32_e32 v5, 16, v7
	v_and_b32_e32 v7, 0xffff0000, v7
	v_max3_f32 v4, v4, |v14|, |v6|
	v_lshlrev_b32_e32 v6, 16, v8
	v_and_b32_e32 v8, 0xffff0000, v8
	s_delay_alu instid0(VALU_DEP_3) | instskip(SKIP_3) | instid1(VALU_DEP_3)
	v_max3_f32 v4, v4, |v5|, |v7|
	s_waitcnt vmcnt(0)
	v_lshlrev_b32_e32 v5, 16, v9
	v_and_b32_e32 v7, 0xffff0000, v9
	v_max3_f32 v4, v4, |v6|, |v8|
	v_lshlrev_b32_e32 v6, 16, v10
	v_and_b32_e32 v8, 0xffff0000, v10
	s_delay_alu instid0(VALU_DEP_3) | instskip(SKIP_2) | instid1(VALU_DEP_3)
	v_max3_f32 v4, v4, |v5|, |v7|
	v_lshlrev_b32_e32 v5, 16, v11
	v_and_b32_e32 v7, 0xffff0000, v11
	v_max3_f32 v4, v4, |v6|, |v8|
	v_lshlrev_b32_e32 v6, 16, v12
	v_and_b32_e32 v8, 0xffff0000, v12
	s_delay_alu instid0(VALU_DEP_3) | instskip(NEXT) | instid1(VALU_DEP_1)
	v_max3_f32 v4, v4, |v5|, |v7|
	v_max3_f32 v4, v4, |v6|, |v8|
	s_and_not1_b32 exec_lo, exec_lo, s5
	s_cbranch_execnz .LBB10_17
; %bb.18:
	s_or_b32 exec_lo, exec_lo, s5
.LBB10_19:
	s_delay_alu instid0(SALU_CYCLE_1)
	s_or_b32 exec_lo, exec_lo, s3
.LBB10_20:
	v_mbcnt_lo_u32_b32 v1, -1, 0
	s_delay_alu instid0(VALU_DEP_1)
	v_cmp_ne_u32_e32 vcc_lo, 31, v1
	v_add_nc_u32_e32 v6, 1, v1
	v_cmp_gt_u32_e64 s2, 28, v1
	v_add_nc_u32_e32 v7, 2, v1
	v_cmp_gt_u32_e64 s3, 24, v1
	v_add_co_ci_u32_e32 v2, vcc_lo, 0, v1, vcc_lo
	v_cmp_gt_u32_e32 vcc_lo, 30, v1
	v_cmp_gt_u32_e64 s4, 16, v1
	s_delay_alu instid0(VALU_DEP_3)
	v_lshlrev_b32_e32 v2, 2, v2
	v_cndmask_b32_e64 v5, 0, 1, vcc_lo
	ds_bpermute_b32 v2, v2, v4
	s_waitcnt lgkmcnt(0)
	v_cmp_lt_f32_e32 vcc_lo, v4, v2
	v_dual_cndmask_b32 v2, v4, v2 :: v_dual_and_b32 v3, 0x3e0, v0
	s_delay_alu instid0(VALU_DEP_1) | instskip(NEXT) | instid1(VALU_DEP_1)
	v_sub_nc_u32_e64 v3, s28, v3 clamp
	v_cmp_lt_u32_e32 vcc_lo, v6, v3
	v_lshlrev_b32_e32 v5, 1, v5
	v_cndmask_b32_e64 v6, 0, 1, s2
	v_cndmask_b32_e32 v2, v4, v2, vcc_lo
	s_delay_alu instid0(VALU_DEP_3) | instskip(NEXT) | instid1(VALU_DEP_3)
	v_add_lshl_u32 v5, v5, v1, 2
	v_lshlrev_b32_e32 v6, 2, v6
	ds_bpermute_b32 v5, v5, v2
	v_add_lshl_u32 v6, v6, v1, 2
	s_waitcnt lgkmcnt(0)
	v_cmp_lt_f32_e64 s2, v2, v5
	s_delay_alu instid0(VALU_DEP_1) | instskip(SKIP_2) | instid1(VALU_DEP_2)
	v_cndmask_b32_e64 v5, v2, v5, s2
	v_cmp_lt_u32_e64 s2, v7, v3
	v_add_nc_u32_e32 v7, 4, v1
	v_cndmask_b32_e64 v2, v2, v5, s2
	s_or_b32 s2, vcc_lo, s2
	ds_bpermute_b32 v5, v6, v2
	v_cndmask_b32_e64 v6, 0, 1, s3
	s_delay_alu instid0(VALU_DEP_1) | instskip(NEXT) | instid1(VALU_DEP_1)
	v_lshlrev_b32_e32 v6, 3, v6
	v_add_lshl_u32 v6, v6, v1, 2
	s_waitcnt lgkmcnt(0)
	v_cmp_lt_f32_e64 s3, v2, v5
	s_delay_alu instid0(VALU_DEP_1) | instskip(SKIP_2) | instid1(VALU_DEP_2)
	v_cndmask_b32_e64 v5, v2, v5, s3
	v_cmp_lt_u32_e64 s3, v7, v3
	v_add_nc_u32_e32 v7, 8, v1
	v_cndmask_b32_e64 v2, v2, v5, s3
	s_or_b32 s2, s3, s2
	ds_bpermute_b32 v5, v6, v2
	v_cndmask_b32_e64 v6, 0, 1, s4
	s_delay_alu instid0(VALU_DEP_1) | instskip(NEXT) | instid1(VALU_DEP_1)
	v_lshlrev_b32_e32 v6, 4, v6
	v_add_lshl_u32 v6, v6, v1, 2
	s_waitcnt lgkmcnt(0)
	v_cmp_lt_f32_e64 s4, v2, v5
	s_delay_alu instid0(VALU_DEP_1) | instskip(SKIP_1) | instid1(VALU_DEP_1)
	v_cndmask_b32_e64 v5, v2, v5, s4
	v_cmp_lt_u32_e64 s4, v7, v3
	v_cndmask_b32_e64 v2, v2, v5, s4
	s_or_b32 s2, s4, s2
	ds_bpermute_b32 v5, v6, v2
	v_add_nc_u32_e32 v6, 16, v1
	s_delay_alu instid0(VALU_DEP_1) | instskip(SKIP_2) | instid1(VALU_DEP_1)
	v_cmp_lt_u32_e64 s5, v6, v3
	s_waitcnt lgkmcnt(0)
	v_cmp_lt_f32_e64 s6, v2, v5
	s_and_b32 vcc_lo, s5, s6
	v_cndmask_b32_e32 v2, v2, v5, vcc_lo
	s_or_b32 vcc_lo, s5, s2
	s_mov_b32 s2, exec_lo
	s_delay_alu instid0(VALU_DEP_1)
	v_cndmask_b32_e32 v2, v4, v2, vcc_lo
	v_cmpx_eq_u32_e32 0, v1
	s_cbranch_execz .LBB10_22
; %bb.21:
	v_lshrrev_b32_e32 v3, 3, v0
	s_delay_alu instid0(VALU_DEP_1)
	v_and_b32_e32 v3, 0x7c, v3
	ds_store_b32 v3, v2
.LBB10_22:
	s_or_b32 exec_lo, exec_lo, s2
	s_delay_alu instid0(SALU_CYCLE_1)
	s_mov_b32 s4, exec_lo
	s_waitcnt lgkmcnt(0)
	s_barrier
	buffer_gl0_inv
	v_cmpx_gt_u32_e32 8, v0
	s_cbranch_execz .LBB10_24
; %bb.23:
	v_lshlrev_b32_e32 v2, 2, v1
	s_add_i32 s2, s28, 31
	s_delay_alu instid0(SALU_CYCLE_1) | instskip(SKIP_2) | instid1(VALU_DEP_1)
	s_lshr_b32 s3, s2, 5
	ds_load_b32 v2, v2
	v_and_b32_e32 v3, 7, v1
	v_cmp_ne_u32_e32 vcc_lo, 7, v3
	v_add_co_ci_u32_e32 v4, vcc_lo, 0, v1, vcc_lo
	v_cmp_gt_u32_e32 vcc_lo, 6, v3
	s_delay_alu instid0(VALU_DEP_2)
	v_lshlrev_b32_e32 v4, 2, v4
	v_cndmask_b32_e64 v5, 0, 1, vcc_lo
	s_waitcnt lgkmcnt(0)
	ds_bpermute_b32 v4, v4, v2
	s_waitcnt lgkmcnt(0)
	v_cmp_lt_f32_e32 vcc_lo, v2, v4
	v_cndmask_b32_e32 v4, v2, v4, vcc_lo
	v_add_nc_u32_e32 v6, 1, v3
	v_cmp_gt_u32_e64 s2, 4, v3
	v_add_nc_u32_e32 v8, 2, v3
	v_add_nc_u32_e32 v3, 4, v3
	s_delay_alu instid0(VALU_DEP_4) | instskip(SKIP_3) | instid1(VALU_DEP_3)
	v_cmp_gt_u32_e32 vcc_lo, s3, v6
	v_lshlrev_b32_e32 v5, 1, v5
	v_cndmask_b32_e64 v7, 0, 1, s2
	v_cndmask_b32_e32 v6, v2, v4, vcc_lo
	v_add_lshl_u32 v5, v5, v1, 2
	s_delay_alu instid0(VALU_DEP_3) | instskip(SKIP_4) | instid1(VALU_DEP_1)
	v_lshlrev_b32_e32 v7, 2, v7
	ds_bpermute_b32 v5, v5, v6
	v_add_lshl_u32 v1, v7, v1, 2
	s_waitcnt lgkmcnt(0)
	v_cmp_lt_f32_e64 s2, v6, v5
	v_cndmask_b32_e64 v5, v6, v5, s2
	v_cmp_gt_u32_e64 s2, s3, v8
	s_delay_alu instid0(VALU_DEP_1)
	v_cndmask_b32_e64 v6, v6, v5, s2
	v_cndmask_b32_e64 v4, v4, v5, s2
	v_cmp_gt_u32_e64 s2, s3, v3
	ds_bpermute_b32 v1, v1, v6
	s_waitcnt lgkmcnt(0)
	v_cmp_lt_f32_e64 s3, v4, v1
	s_delay_alu instid0(VALU_DEP_1) | instskip(NEXT) | instid1(SALU_CYCLE_1)
	s_and_b32 s2, s2, s3
	v_cndmask_b32_e64 v1, v4, v1, s2
	s_delay_alu instid0(VALU_DEP_1)
	v_cndmask_b32_e32 v2, v2, v1, vcc_lo
.LBB10_24:
	s_or_b32 exec_lo, exec_lo, s4
	s_load_b64 s[22:23], s[0:1], 0x8
	s_mov_b32 s2, exec_lo
	v_cmpx_eq_u32_e32 0, v0
	s_cbranch_execz .LBB10_26
; %bb.25:
	v_div_scale_f32 v1, null, 0x42fe0000, 0x42fe0000, v2
	v_div_scale_f32 v5, vcc_lo, v2, 0x42fe0000, v2
	s_load_b64 s[0:1], s[0:1], 0x10
	s_delay_alu instid0(VALU_DEP_2) | instskip(SKIP_1) | instid1(SALU_CYCLE_1)
	v_rcp_f32_e32 v3, v1
	s_mov_b32 s9, s7
	s_lshl_b64 s[4:5], s[8:9], 2
	s_waitcnt_depctr 0xfff
	v_fma_f32 v4, -v1, v3, 1.0
	s_delay_alu instid0(VALU_DEP_1) | instskip(SKIP_2) | instid1(VALU_DEP_1)
	v_fmac_f32_e32 v3, v4, v3
	s_waitcnt lgkmcnt(0)
	s_add_u32 s0, s0, s4
	v_mul_f32_e32 v4, v5, v3
	s_addc_u32 s1, s1, s5
	s_delay_alu instid0(VALU_DEP_1) | instskip(NEXT) | instid1(VALU_DEP_1)
	v_fma_f32 v6, -v1, v4, v5
	v_fmac_f32_e32 v4, v6, v3
	s_delay_alu instid0(VALU_DEP_1) | instskip(NEXT) | instid1(VALU_DEP_1)
	v_fma_f32 v1, -v1, v4, v5
	v_div_fmas_f32 v1, v1, v3, v4
	v_mov_b32_e32 v3, 0
	s_delay_alu instid0(VALU_DEP_2)
	v_div_fixup_f32 v1, v1, 0x42fe0000, v2
	ds_store_b32 v3, v2 offset:32
	global_store_b32 v3, v1, s[0:1]
.LBB10_26:
	s_or_b32 exec_lo, exec_lo, s2
	v_mov_b32_e32 v1, 0
	s_waitcnt lgkmcnt(0)
	s_waitcnt_vscnt null, 0x0
	s_barrier
	buffer_gl0_inv
	s_mov_b32 s0, -1
	ds_load_b32 v1, v1 offset:32
	s_waitcnt lgkmcnt(0)
	v_div_scale_f32 v2, null, v1, v1, 0x42fe0000
	v_div_scale_f32 v5, vcc_lo, 0x42fe0000, v1, 0x42fe0000
	s_delay_alu instid0(VALU_DEP_2) | instskip(SKIP_2) | instid1(VALU_DEP_1)
	v_rcp_f32_e32 v3, v2
	s_waitcnt_depctr 0xfff
	v_fma_f32 v4, -v2, v3, 1.0
	v_fmac_f32_e32 v3, v4, v3
	s_delay_alu instid0(VALU_DEP_1) | instskip(NEXT) | instid1(VALU_DEP_1)
	v_mul_f32_e32 v4, v5, v3
	v_fma_f32 v6, -v2, v4, v5
	s_delay_alu instid0(VALU_DEP_1) | instskip(NEXT) | instid1(VALU_DEP_1)
	v_fmac_f32_e32 v4, v6, v3
	v_fma_f32 v2, -v2, v4, v5
	s_delay_alu instid0(VALU_DEP_1) | instskip(SKIP_1) | instid1(VALU_DEP_2)
	v_div_fmas_f32 v2, v2, v3, v4
	v_cmp_neq_f32_e32 vcc_lo, 0, v1
	v_div_fixup_f32 v2, v2, v1, 0x42fe0000
	s_delay_alu instid0(VALU_DEP_1)
	v_cndmask_b32_e32 v5, 0, v2, vcc_lo
	s_and_b32 vcc_lo, exec_lo, s10
	s_cbranch_vccz .LBB10_47
; %bb.27:
	s_add_u32 s26, s22, s20
	s_addc_u32 s27, s23, s21
	s_sub_i32 s0, 0, s30
	v_cvt_f32_u32_e32 v6, s28
	s_bfe_u32 s0, s0, 0x40001
	s_mov_b32 s1, exec_lo
	s_min_i32 s24, s0, s29
	s_delay_alu instid0(SALU_CYCLE_1)
	v_cmpx_gt_i32_e64 s24, v0
	s_cbranch_execz .LBB10_35
; %bb.28:
	v_rcp_iflag_f32_e32 v1, v6
	s_sub_i32 s0, 0, s28
	v_add_nc_u32_e32 v3, s28, v0
	s_cmp_eq_u32 s28, 1
	s_mov_b32 s2, -1
	s_delay_alu instid0(VALU_DEP_1) | instskip(SKIP_3) | instid1(VALU_DEP_1)
	v_cmp_gt_i32_e32 vcc_lo, s24, v3
	v_max_i32_e32 v4, s24, v3
	s_waitcnt_depctr 0xfff
	v_mul_f32_e32 v1, 0x4f7ffffe, v1
	v_cvt_u32_f32_e32 v1, v1
	s_delay_alu instid0(VALU_DEP_1) | instskip(SKIP_1) | instid1(VALU_DEP_1)
	v_mul_lo_u32 v2, s0, v1
	v_add_co_ci_u32_e64 v3, s0, s28, v0, vcc_lo
	v_sub_nc_u32_e32 v3, v4, v3
	s_delay_alu instid0(VALU_DEP_3) | instskip(NEXT) | instid1(VALU_DEP_1)
	v_mul_hi_u32 v2, v1, v2
	v_add_nc_u32_e32 v1, v1, v2
	s_delay_alu instid0(VALU_DEP_1) | instskip(NEXT) | instid1(VALU_DEP_1)
	v_mul_hi_u32 v1, v3, v1
	v_mul_lo_u32 v2, v1, s28
	s_delay_alu instid0(VALU_DEP_1) | instskip(SKIP_1) | instid1(VALU_DEP_2)
	v_sub_nc_u32_e32 v2, v3, v2
	v_add_nc_u32_e32 v3, 1, v1
	v_subrev_nc_u32_e32 v4, s28, v2
	v_cmp_le_u32_e64 s0, s28, v2
	s_delay_alu instid0(VALU_DEP_1) | instskip(NEXT) | instid1(VALU_DEP_3)
	v_cndmask_b32_e64 v1, v1, v3, s0
	v_cndmask_b32_e64 v2, v2, v4, s0
	s_delay_alu instid0(VALU_DEP_2) | instskip(NEXT) | instid1(VALU_DEP_2)
	v_add_nc_u32_e32 v3, 1, v1
	v_cmp_le_u32_e64 s0, s28, v2
	s_delay_alu instid0(VALU_DEP_1) | instskip(SKIP_1) | instid1(VALU_DEP_1)
	v_cndmask_b32_e64 v1, v1, v3, s0
	s_cselect_b32 s0, -1, 0
	v_add_co_ci_u32_e32 v3, vcc_lo, 1, v1, vcc_lo
	v_mov_b32_e32 v1, v0
	s_delay_alu instid0(VALU_DEP_2) | instskip(SKIP_1) | instid1(SALU_CYCLE_1)
	v_cmp_lt_u32_e32 vcc_lo, 1, v3
	s_and_b32 s3, vcc_lo, s0
	s_and_saveexec_b32 s0, s3
	s_cbranch_execz .LBB10_32
; %bb.29:
	v_dual_mov_b32 v1, v0 :: v_dual_and_b32 v4, -2, v3
	v_mov_b32_e32 v2, 0
	s_mov_b32 s2, 0
	s_delay_alu instid0(VALU_DEP_2)
	v_mov_b32_e32 v7, v4
	s_set_inst_prefetch_distance 0x1
	.p2align	6
.LBB10_30:                              ; =>This Inner Loop Header: Depth=1
	s_delay_alu instid0(VALU_DEP_1) | instskip(NEXT) | instid1(VALU_DEP_2)
	v_lshlrev_b64 v[8:9], 1, v[1:2]
	v_add_nc_u32_e32 v7, -2, v7
	s_delay_alu instid0(VALU_DEP_2) | instskip(NEXT) | instid1(VALU_DEP_3)
	v_add_co_u32 v8, vcc_lo, s30, v8
	v_add_co_ci_u32_e32 v9, vcc_lo, s31, v9, vcc_lo
	global_load_b32 v8, v[8:9], off
	s_waitcnt vmcnt(0)
	v_and_b32_e32 v9, 0xffff0000, v8
	s_delay_alu instid0(VALU_DEP_1) | instskip(NEXT) | instid1(VALU_DEP_1)
	v_dual_mul_f32 v9, v5, v9 :: v_dual_lshlrev_b32 v8, 16, v8
	v_rndne_f32_e32 v9, v9
	s_delay_alu instid0(VALU_DEP_1) | instskip(SKIP_1) | instid1(VALU_DEP_4)
	v_cmp_nlt_f32_e32 vcc_lo, 0x42fe0000, v9
	v_cndmask_b32_e32 v10, 0x42fe0000, v9, vcc_lo
	v_mul_f32_e32 v8, v5, v8
	s_delay_alu instid0(VALU_DEP_1) | instskip(NEXT) | instid1(VALU_DEP_1)
	v_rndne_f32_e32 v8, v8
	v_cmp_nlt_f32_e32 vcc_lo, 0x42fe0000, v8
	v_cndmask_b32_e32 v11, 0x42fe0000, v8, vcc_lo
	v_cmp_ngt_f32_e32 vcc_lo, 0xc3000000, v9
	v_cndmask_b32_e32 v9, 0xc3000000, v10, vcc_lo
	v_cmp_ngt_f32_e32 vcc_lo, 0xc3000000, v8
	s_delay_alu instid0(VALU_DEP_2) | instskip(SKIP_2) | instid1(VALU_DEP_3)
	v_cvt_i32_f32_e32 v9, v9
	v_cndmask_b32_e32 v8, 0xc3000000, v11, vcc_lo
	v_cmp_eq_u32_e32 vcc_lo, 0, v7
	v_lshlrev_b16 v9, 8, v9
	s_delay_alu instid0(VALU_DEP_3) | instskip(SKIP_1) | instid1(VALU_DEP_1)
	v_cvt_i32_f32_e32 v8, v8
	s_or_b32 s2, vcc_lo, s2
	v_and_b32_e32 v8, 0xff, v8
	s_delay_alu instid0(VALU_DEP_1)
	v_or_b32_e32 v8, v8, v9
	global_store_b16 v1, v8, s[26:27]
	v_add_nc_u32_e32 v1, 2, v1
	s_and_not1_b32 exec_lo, exec_lo, s2
	s_cbranch_execnz .LBB10_30
; %bb.31:
	s_set_inst_prefetch_distance 0x2
	s_or_b32 exec_lo, exec_lo, s2
	v_cmp_ne_u32_e32 vcc_lo, v3, v4
	v_add_nc_u32_e32 v1, v0, v4
	s_or_not1_b32 s2, vcc_lo, exec_lo
.LBB10_32:
	s_or_b32 exec_lo, exec_lo, s0
	s_delay_alu instid0(SALU_CYCLE_1)
	s_and_b32 exec_lo, exec_lo, s2
	s_cbranch_execz .LBB10_35
; %bb.33:
	v_mov_b32_e32 v2, 0
	s_add_u32 s0, s16, s18
	s_addc_u32 s2, s17, s19
	s_lshl_b32 s3, s28, 1
	s_delay_alu instid0(VALU_DEP_1) | instskip(NEXT) | instid1(VALU_DEP_1)
	v_lshlrev_b64 v[3:4], 1, v[1:2]
	v_add_co_u32 v3, vcc_lo, s0, v3
	s_delay_alu instid0(VALU_DEP_2)
	v_add_co_ci_u32_e32 v4, vcc_lo, s2, v4, vcc_lo
	s_mov_b32 s2, 0
	.p2align	6
.LBB10_34:                              ; =>This Inner Loop Header: Depth=1
	global_load_u16 v7, v[3:4], off
	s_waitcnt vmcnt(0)
	v_lshlrev_b32_e32 v8, 16, v7
	v_add_co_u32 v7, vcc_lo, s26, v1
	s_delay_alu instid0(VALU_DEP_2) | instskip(SKIP_2) | instid1(VALU_DEP_3)
	v_mul_f32_e32 v9, v5, v8
	v_add_co_ci_u32_e32 v8, vcc_lo, s27, v2, vcc_lo
	v_add_co_u32 v1, vcc_lo, v1, s28
	v_rndne_f32_e32 v9, v9
	v_add_co_ci_u32_e32 v2, vcc_lo, 0, v2, vcc_lo
	s_delay_alu instid0(VALU_DEP_2) | instskip(SKIP_1) | instid1(VALU_DEP_2)
	v_cmp_nlt_f32_e64 s0, 0x42fe0000, v9
	v_cmp_ngt_f32_e32 vcc_lo, 0xc3000000, v9
	v_cndmask_b32_e64 v10, 0x42fe0000, v9, s0
	v_cmp_le_i32_e64 s0, s24, v1
	s_delay_alu instid0(VALU_DEP_2) | instskip(SKIP_2) | instid1(VALU_DEP_3)
	v_cndmask_b32_e32 v9, 0xc3000000, v10, vcc_lo
	v_add_co_u32 v3, vcc_lo, v3, s3
	v_add_co_ci_u32_e32 v4, vcc_lo, 0, v4, vcc_lo
	v_cvt_i32_f32_e32 v9, v9
	s_or_b32 s2, s0, s2
	global_store_b8 v[7:8], v9, off
	s_and_not1_b32 exec_lo, exec_lo, s2
	s_cbranch_execnz .LBB10_34
.LBB10_35:
	s_or_b32 exec_lo, exec_lo, s1
	s_sub_i32 s33, s29, s24
	s_ashr_i32 s25, s24, 31
	s_ashr_i32 s0, s33, 31
	s_mov_b32 s35, exec_lo
	s_lshr_b32 s0, s0, 28
	s_delay_alu instid0(SALU_CYCLE_1) | instskip(NEXT) | instid1(SALU_CYCLE_1)
	s_add_i32 s0, s33, s0
	s_ashr_i32 s34, s0, 4
	s_delay_alu instid0(SALU_CYCLE_1)
	v_cmpx_gt_i32_e64 s34, v0
	s_cbranch_execz .LBB10_38
; %bb.36:
	v_lshlrev_b32_e32 v1, 4, v0
	s_add_u32 s0, s24, s20
	s_addc_u32 s1, s25, s21
	s_add_u32 s0, s22, s0
	s_addc_u32 s1, s23, s1
	v_add_co_u32 v1, s0, s0, v1
	s_delay_alu instid0(VALU_DEP_1)
	v_add_co_ci_u32_e64 v2, null, s1, 0, s0
	s_lshl_b64 s[0:1], s[24:25], 1
	s_lshl_b32 s36, s28, 4
	v_lshlrev_b32_e32 v3, 5, v0
	s_add_u32 s0, s16, s0
	s_addc_u32 s1, s17, s1
	s_add_u32 s0, s0, s18
	s_addc_u32 s1, s1, s19
	v_add_co_u32 v3, s0, s0, v3
	s_delay_alu instid0(VALU_DEP_1)
	v_add_co_ci_u32_e64 v4, null, s1, 0, s0
	v_mov_b32_e32 v7, v0
	s_mov_b32 s37, 0
	s_lshl_b32 s38, s28, 5
.LBB10_37:                              ; =>This Inner Loop Header: Depth=1
	s_clause 0x1
	global_load_b128 v[8:11], v[3:4], off
	global_load_b128 v[12:15], v[3:4], off offset:16
	v_add_co_u32 v3, vcc_lo, v3, s38
	v_add_co_ci_u32_e32 v4, vcc_lo, 0, v4, vcc_lo
	s_waitcnt vmcnt(1)
	v_lshlrev_b32_e32 v19, 16, v11
	s_waitcnt vmcnt(0)
	v_lshlrev_b32_e32 v23, 16, v15
	v_lshlrev_b32_e32 v22, 16, v14
	v_and_b32_e32 v15, 0xffff0000, v15
	v_and_b32_e32 v14, 0xffff0000, v14
	v_lshlrev_b32_e32 v21, 16, v13
	v_lshlrev_b32_e32 v20, 16, v12
	s_delay_alu instid0(VALU_DEP_4) | instskip(NEXT) | instid1(VALU_DEP_4)
	v_dual_mul_f32 v15, v5, v15 :: v_dual_lshlrev_b32 v18, 16, v10
	v_mul_f32_e32 v14, v5, v14
	v_mul_f32_e32 v23, v5, v23
	v_dual_mul_f32 v22, v5, v22 :: v_dual_and_b32 v13, 0xffff0000, v13
	v_and_b32_e32 v12, 0xffff0000, v12
	v_lshlrev_b32_e32 v17, 16, v9
	s_delay_alu instid0(VALU_DEP_3) | instskip(NEXT) | instid1(VALU_DEP_4)
	v_dual_mul_f32 v13, v5, v13 :: v_dual_lshlrev_b32 v16, 16, v8
	v_rndne_f32_e32 v22, v22
	s_delay_alu instid0(VALU_DEP_4) | instskip(SKIP_3) | instid1(VALU_DEP_4)
	v_mul_f32_e32 v12, v5, v12
	v_mul_f32_e32 v21, v5, v21
	v_dual_mul_f32 v20, v5, v20 :: v_dual_and_b32 v11, 0xffff0000, v11
	v_and_b32_e32 v10, 0xffff0000, v10
	v_rndne_f32_e32 v12, v12
	s_delay_alu instid0(VALU_DEP_4) | instskip(NEXT) | instid1(VALU_DEP_4)
	v_rndne_f32_e32 v21, v21
	v_mul_f32_e32 v11, v5, v11
	v_rndne_f32_e32 v20, v20
	v_mul_f32_e32 v10, v5, v10
	v_mul_f32_e32 v19, v5, v19
	v_dual_mul_f32 v18, v5, v18 :: v_dual_and_b32 v9, 0xffff0000, v9
	v_and_b32_e32 v8, 0xffff0000, v8
	s_delay_alu instid0(VALU_DEP_4) | instskip(NEXT) | instid1(VALU_DEP_4)
	v_rndne_f32_e32 v10, v10
	v_rndne_f32_e32 v19, v19
	s_delay_alu instid0(VALU_DEP_4)
	v_mul_f32_e32 v9, v5, v9
	v_rndne_f32_e32 v18, v18
	v_mul_f32_e32 v8, v5, v8
	v_mul_f32_e32 v17, v5, v17
	v_dual_mul_f32 v16, v5, v16 :: v_dual_add_nc_u32 v7, s28, v7
	v_rndne_f32_e32 v9, v9
	s_delay_alu instid0(VALU_DEP_4) | instskip(NEXT) | instid1(VALU_DEP_4)
	v_rndne_f32_e32 v8, v8
	v_rndne_f32_e32 v17, v17
	;; [unrolled: 1-line block ×8, first 2 shown]
	v_cmp_nlt_f32_e64 s0, 0x42fe0000, v16
	v_cmp_nlt_f32_e64 s1, 0x42fe0000, v17
	v_cmp_nlt_f32_e64 s2, 0x42fe0000, v9
	v_cmp_nlt_f32_e64 s3, 0x42fe0000, v18
	v_cmp_nlt_f32_e64 s4, 0x42fe0000, v10
	v_cndmask_b32_e64 v24, 0x42fe0000, v16, s0
	v_cmp_nlt_f32_e64 s0, 0x42fe0000, v8
	v_cmp_nlt_f32_e64 s5, 0x42fe0000, v19
	;; [unrolled: 1-line block ×11, first 2 shown]
	v_cndmask_b32_e64 v25, 0x42fe0000, v8, s0
	v_cmp_ngt_f32_e64 s0, 0xc3000000, v8
	v_cndmask_b32_e64 v8, 0x42fe0000, v17, s1
	v_cmp_ngt_f32_e64 s1, 0xc3000000, v17
	;; [unrolled: 2-line block ×15, first 2 shown]
	v_cmp_ngt_f32_e64 s15, 0xc3000000, v16
	v_cndmask_b32_e64 v16, 0xc3000000, v25, s0
	v_cndmask_b32_e64 v8, 0xc3000000, v8, s1
	;; [unrolled: 1-line block ×16, first 2 shown]
	v_cvt_i32_f32_e32 v15, v15
	v_cvt_i32_f32_e32 v16, v16
	v_cvt_i32_f32_e32 v8, v8
	v_cvt_i32_f32_e32 v17, v17
	v_cvt_i32_f32_e32 v9, v9
	v_cvt_i32_f32_e32 v18, v18
	v_cvt_i32_f32_e32 v10, v10
	v_cvt_i32_f32_e32 v19, v19
	v_cvt_i32_f32_e32 v11, v11
	v_cvt_i32_f32_e32 v20, v20
	v_cvt_i32_f32_e32 v12, v12
	v_cvt_i32_f32_e32 v22, v22
	v_cvt_i32_f32_e32 v13, v13
	v_cvt_i32_f32_e32 v23, v23
	v_cvt_i32_f32_e32 v14, v14
	v_cvt_i32_f32_e32 v21, v21
	v_lshlrev_b16 v22, 8, v22
	v_and_b32_e32 v13, 0xff, v13
	v_lshlrev_b16 v23, 8, v23
	v_and_b32_e32 v14, 0xff, v14
	;; [unrolled: 2-line block ×8, first 2 shown]
	v_or_b32_e32 v13, v13, v22
	v_or_b32_e32 v14, v14, v23
	v_or_b32_e32 v11, v11, v20
	v_or_b32_e32 v12, v12, v21
	v_or_b32_e32 v9, v9, v18
	v_or_b32_e32 v10, v10, v19
	v_or_b32_e32 v15, v15, v16
	v_or_b32_e32 v8, v8, v17
	v_and_b32_e32 v13, 0xffff, v13
	v_lshlrev_b32_e32 v14, 16, v14
	v_and_b32_e32 v16, 0xffff, v11
	v_lshlrev_b32_e32 v12, 16, v12
	;; [unrolled: 2-line block ×4, first 2 shown]
	v_or_b32_e32 v11, v13, v14
	v_or_b32_e32 v10, v16, v12
	;; [unrolled: 1-line block ×3, first 2 shown]
	v_cmp_le_i32_e32 vcc_lo, s34, v7
	v_or_b32_e32 v8, v15, v8
	s_or_b32 s37, vcc_lo, s37
	global_store_b128 v[1:2], v[8:11], off
	v_add_co_u32 v1, s0, v1, s36
	s_delay_alu instid0(VALU_DEP_1)
	v_add_co_ci_u32_e64 v2, s0, 0, v2, s0
	s_and_not1_b32 exec_lo, exec_lo, s37
	s_cbranch_execnz .LBB10_37
.LBB10_38:
	s_or_b32 exec_lo, exec_lo, s35
	v_lshl_add_u32 v1, s34, 4, v0
	s_mov_b32 s1, exec_lo
	s_delay_alu instid0(VALU_DEP_1)
	v_cmpx_gt_i32_e64 s33, v1
	s_cbranch_execz .LBB10_46
; %bb.39:
	v_rcp_iflag_f32_e32 v2, v6
	s_add_u32 s2, s26, s24
	s_addc_u32 s3, s27, s25
	s_sub_i32 s0, 0, s28
	v_add_nc_u32_e32 v4, s28, v1
	s_cmp_eq_u32 s28, 1
	s_mov_b32 s5, 0
	s_delay_alu instid0(VALU_DEP_1) | instskip(SKIP_3) | instid1(VALU_DEP_2)
	v_cmp_gt_i32_e32 vcc_lo, s33, v4
	s_waitcnt_depctr 0xfff
	v_mul_f32_e32 v2, 0x4f7ffffe, v2
	v_max_i32_e32 v6, s33, v4
	v_cvt_u32_f32_e32 v2, v2
	s_delay_alu instid0(VALU_DEP_1) | instskip(SKIP_1) | instid1(VALU_DEP_1)
	v_mul_lo_u32 v3, s0, v2
	v_add_co_ci_u32_e64 v4, s0, s28, v1, vcc_lo
	v_sub_nc_u32_e32 v4, v6, v4
	s_delay_alu instid0(VALU_DEP_3) | instskip(NEXT) | instid1(VALU_DEP_1)
	v_mul_hi_u32 v3, v2, v3
	v_add_nc_u32_e32 v2, v2, v3
	s_delay_alu instid0(VALU_DEP_1) | instskip(NEXT) | instid1(VALU_DEP_1)
	v_mul_hi_u32 v2, v4, v2
	v_mul_lo_u32 v3, v2, s28
	s_delay_alu instid0(VALU_DEP_1) | instskip(SKIP_1) | instid1(VALU_DEP_2)
	v_sub_nc_u32_e32 v3, v4, v3
	v_add_nc_u32_e32 v4, 1, v2
	v_subrev_nc_u32_e32 v6, s28, v3
	v_cmp_le_u32_e64 s0, s28, v3
	s_delay_alu instid0(VALU_DEP_1) | instskip(NEXT) | instid1(VALU_DEP_3)
	v_cndmask_b32_e64 v2, v2, v4, s0
	v_cndmask_b32_e64 v3, v3, v6, s0
	s_delay_alu instid0(VALU_DEP_2) | instskip(NEXT) | instid1(VALU_DEP_2)
	v_add_nc_u32_e32 v4, 1, v2
	v_cmp_le_u32_e64 s0, s28, v3
	s_delay_alu instid0(VALU_DEP_1) | instskip(SKIP_1) | instid1(VALU_DEP_1)
	v_cndmask_b32_e64 v2, v2, v4, s0
	s_cselect_b32 s0, -1, 0
	v_add_co_ci_u32_e32 v4, vcc_lo, 1, v2, vcc_lo
	s_delay_alu instid0(VALU_DEP_1)
	v_cmp_lt_u32_e32 vcc_lo, 1, v4
	s_and_b32 s6, vcc_lo, s0
	s_mov_b32 s0, -1
	s_and_saveexec_b32 s4, s6
	s_cbranch_execz .LBB10_43
; %bb.40:
	v_and_b32_e32 v6, -2, v4
	s_lshl_b64 s[6:7], s[24:25], 1
	v_mov_b32_e32 v2, v1
	s_add_u32 s6, s30, s6
	s_addc_u32 s7, s31, s7
	v_mov_b32_e32 v7, v6
.LBB10_41:                              ; =>This Inner Loop Header: Depth=1
	s_delay_alu instid0(VALU_DEP_2) | instskip(NEXT) | instid1(VALU_DEP_2)
	v_ashrrev_i32_e32 v3, 31, v2
	v_add_nc_u32_e32 v7, -2, v7
	s_delay_alu instid0(VALU_DEP_2) | instskip(NEXT) | instid1(VALU_DEP_1)
	v_lshlrev_b64 v[8:9], 1, v[2:3]
	v_add_co_u32 v8, vcc_lo, s6, v8
	s_delay_alu instid0(VALU_DEP_2) | instskip(SKIP_3) | instid1(VALU_DEP_1)
	v_add_co_ci_u32_e32 v9, vcc_lo, s7, v9, vcc_lo
	global_load_b32 v8, v[8:9], off
	s_waitcnt vmcnt(0)
	v_and_b32_e32 v9, 0xffff0000, v8
	v_dual_mul_f32 v9, v5, v9 :: v_dual_lshlrev_b32 v8, 16, v8
	s_delay_alu instid0(VALU_DEP_1) | instskip(NEXT) | instid1(VALU_DEP_1)
	v_rndne_f32_e32 v9, v9
	v_cmp_nlt_f32_e32 vcc_lo, 0x42fe0000, v9
	v_cndmask_b32_e32 v10, 0x42fe0000, v9, vcc_lo
	s_delay_alu instid0(VALU_DEP_4) | instskip(NEXT) | instid1(VALU_DEP_1)
	v_mul_f32_e32 v8, v5, v8
	v_rndne_f32_e32 v8, v8
	s_delay_alu instid0(VALU_DEP_1) | instskip(SKIP_4) | instid1(VALU_DEP_2)
	v_cmp_nlt_f32_e32 vcc_lo, 0x42fe0000, v8
	v_cndmask_b32_e32 v11, 0x42fe0000, v8, vcc_lo
	v_cmp_ngt_f32_e32 vcc_lo, 0xc3000000, v9
	v_cndmask_b32_e32 v9, 0xc3000000, v10, vcc_lo
	v_cmp_ngt_f32_e32 vcc_lo, 0xc3000000, v8
	v_cvt_i32_f32_e32 v9, v9
	v_cndmask_b32_e32 v8, 0xc3000000, v11, vcc_lo
	v_cmp_eq_u32_e32 vcc_lo, 0, v7
	s_delay_alu instid0(VALU_DEP_3) | instskip(NEXT) | instid1(VALU_DEP_3)
	v_lshlrev_b16 v10, 8, v9
	v_cvt_i32_f32_e32 v8, v8
	s_or_b32 s5, vcc_lo, s5
	s_delay_alu instid0(VALU_DEP_1) | instskip(SKIP_3) | instid1(VALU_DEP_4)
	v_and_b32_e32 v11, 0xff, v8
	v_add_co_u32 v8, s0, s2, v2
	v_add_nc_u32_e32 v2, 2, v2
	v_add_co_ci_u32_e64 v9, s0, s3, v3, s0
	v_or_b32_e32 v3, v11, v10
	global_store_b16 v[8:9], v3, off
	s_and_not1_b32 exec_lo, exec_lo, s5
	s_cbranch_execnz .LBB10_41
; %bb.42:
	s_or_b32 exec_lo, exec_lo, s5
	v_cmp_ne_u32_e32 vcc_lo, v4, v6
	v_add_nc_u32_e32 v1, v1, v6
	s_or_not1_b32 s0, vcc_lo, exec_lo
.LBB10_43:
	s_or_b32 exec_lo, exec_lo, s4
	s_delay_alu instid0(SALU_CYCLE_1)
	s_and_b32 exec_lo, exec_lo, s0
	s_cbranch_execz .LBB10_46
; %bb.44:
	v_ashrrev_i32_e32 v2, 31, v1
	s_lshl_b64 s[4:5], s[24:25], 1
	s_delay_alu instid0(SALU_CYCLE_1) | instskip(SKIP_1) | instid1(VALU_DEP_1)
	s_add_u32 s0, s18, s4
	s_addc_u32 s4, s19, s5
	v_lshlrev_b64 v[3:4], 1, v[1:2]
	s_add_u32 s0, s16, s0
	s_addc_u32 s4, s17, s4
	s_lshl_b32 s5, s28, 1
	s_delay_alu instid0(VALU_DEP_1) | instskip(NEXT) | instid1(VALU_DEP_2)
	v_add_co_u32 v3, vcc_lo, s0, v3
	v_add_co_ci_u32_e32 v4, vcc_lo, s4, v4, vcc_lo
	s_mov_b32 s4, 0
	.p2align	6
.LBB10_45:                              ; =>This Inner Loop Header: Depth=1
	global_load_u16 v6, v[3:4], off
	s_waitcnt vmcnt(0)
	v_lshlrev_b32_e32 v7, 16, v6
	v_add_co_u32 v6, vcc_lo, s2, v1
	s_delay_alu instid0(VALU_DEP_2) | instskip(SKIP_2) | instid1(VALU_DEP_3)
	v_mul_f32_e32 v8, v5, v7
	v_add_co_ci_u32_e32 v7, vcc_lo, s3, v2, vcc_lo
	v_add_co_u32 v1, vcc_lo, v1, s28
	v_rndne_f32_e32 v8, v8
	v_add_co_ci_u32_e32 v2, vcc_lo, 0, v2, vcc_lo
	s_delay_alu instid0(VALU_DEP_2) | instskip(SKIP_1) | instid1(VALU_DEP_2)
	v_cmp_nlt_f32_e64 s0, 0x42fe0000, v8
	v_cmp_ngt_f32_e32 vcc_lo, 0xc3000000, v8
	v_cndmask_b32_e64 v9, 0x42fe0000, v8, s0
	v_cmp_le_i32_e64 s0, s33, v1
	s_delay_alu instid0(VALU_DEP_2) | instskip(SKIP_2) | instid1(VALU_DEP_3)
	v_cndmask_b32_e32 v8, 0xc3000000, v9, vcc_lo
	v_add_co_u32 v3, vcc_lo, v3, s5
	v_add_co_ci_u32_e32 v4, vcc_lo, 0, v4, vcc_lo
	v_cvt_i32_f32_e32 v8, v8
	s_or_b32 s4, s0, s4
	global_store_b8 v[6:7], v8, off
	s_and_not1_b32 exec_lo, exec_lo, s4
	s_cbranch_execnz .LBB10_45
.LBB10_46:
	s_or_b32 exec_lo, exec_lo, s1
	s_mov_b32 s0, 0
.LBB10_47:
	s_delay_alu instid0(SALU_CYCLE_1)
	s_and_b32 vcc_lo, exec_lo, s0
	s_cbranch_vccz .LBB10_51
; %bb.48:
	s_ashr_i32 s24, s29, 4
	s_mov_b32 s0, exec_lo
	v_cmpx_gt_i32_e64 s24, v0
	s_cbranch_execz .LBB10_51
; %bb.49:
	v_lshlrev_b32_e32 v1, 4, v0
	s_add_u32 s0, s22, s20
	v_lshlrev_b32_e32 v3, 5, v0
	s_addc_u32 s1, s23, s21
	s_lshl_b32 s20, s28, 4
	v_add_co_u32 v1, s0, s0, v1
	s_delay_alu instid0(VALU_DEP_1) | instskip(SKIP_3) | instid1(VALU_DEP_1)
	v_add_co_ci_u32_e64 v2, null, s1, 0, s0
	s_add_u32 s0, s16, s18
	s_addc_u32 s1, s17, s19
	v_add_co_u32 v3, s0, s0, v3
	v_add_co_ci_u32_e64 v4, null, s1, 0, s0
	s_mov_b32 s16, 0
	s_lshl_b32 s17, s28, 5
.LBB10_50:                              ; =>This Inner Loop Header: Depth=1
	s_clause 0x1
	global_load_b128 v[6:9], v[3:4], off
	global_load_b128 v[10:13], v[3:4], off offset:16
	v_add_co_u32 v3, vcc_lo, v3, s17
	v_add_co_ci_u32_e32 v4, vcc_lo, 0, v4, vcc_lo
	s_waitcnt vmcnt(1)
	v_lshlrev_b32_e32 v17, 16, v9
	s_waitcnt vmcnt(0)
	v_lshlrev_b32_e32 v21, 16, v13
	v_and_b32_e32 v13, 0xffff0000, v13
	v_lshlrev_b32_e32 v20, 16, v12
	v_and_b32_e32 v12, 0xffff0000, v12
	;; [unrolled: 2-line block ×3, first 2 shown]
	v_lshlrev_b32_e32 v18, 16, v10
	s_delay_alu instid0(VALU_DEP_4)
	v_dual_mul_f32 v12, v5, v12 :: v_dual_and_b32 v9, 0xffff0000, v9
	v_mul_f32_e32 v13, v5, v13
	v_mul_f32_e32 v20, v5, v20
	v_dual_mul_f32 v21, v5, v21 :: v_dual_and_b32 v10, 0xffff0000, v10
	v_lshlrev_b32_e32 v16, 16, v8
	v_lshlrev_b32_e32 v15, 16, v7
	s_delay_alu instid0(VALU_DEP_3)
	v_dual_mul_f32 v10, v5, v10 :: v_dual_and_b32 v7, 0xffff0000, v7
	v_mul_f32_e32 v11, v5, v11
	v_mul_f32_e32 v18, v5, v18
	v_dual_mul_f32 v19, v5, v19 :: v_dual_and_b32 v8, 0xffff0000, v8
	v_lshlrev_b32_e32 v14, 16, v6
	v_rndne_f32_e32 v10, v10
	s_delay_alu instid0(VALU_DEP_4) | instskip(NEXT) | instid1(VALU_DEP_4)
	v_rndne_f32_e32 v18, v18
	v_mul_f32_e32 v8, v5, v8
	v_mul_f32_e32 v9, v5, v9
	;; [unrolled: 1-line block ×3, first 2 shown]
	v_dual_mul_f32 v17, v5, v17 :: v_dual_and_b32 v6, 0xffff0000, v6
	s_delay_alu instid0(VALU_DEP_4) | instskip(NEXT) | instid1(VALU_DEP_4)
	v_rndne_f32_e32 v8, v8
	v_rndne_f32_e32 v9, v9
	s_delay_alu instid0(VALU_DEP_4) | instskip(NEXT) | instid1(VALU_DEP_4)
	v_rndne_f32_e32 v16, v16
	v_mul_f32_e32 v6, v5, v6
	v_mul_f32_e32 v7, v5, v7
	;; [unrolled: 1-line block ×3, first 2 shown]
	v_dual_mul_f32 v15, v5, v15 :: v_dual_add_nc_u32 v0, s28, v0
	s_delay_alu instid0(VALU_DEP_4) | instskip(NEXT) | instid1(VALU_DEP_4)
	v_rndne_f32_e32 v6, v6
	v_rndne_f32_e32 v7, v7
	s_delay_alu instid0(VALU_DEP_4)
	v_rndne_f32_e32 v14, v14
	v_rndne_f32_e32 v17, v17
	;; [unrolled: 1-line block ×9, first 2 shown]
	v_cmp_nlt_f32_e64 s0, 0x42fe0000, v14
	v_cmp_nlt_f32_e64 s1, 0x42fe0000, v15
	;; [unrolled: 1-line block ×5, first 2 shown]
	v_cndmask_b32_e64 v22, 0x42fe0000, v14, s0
	v_cmp_nlt_f32_e64 s0, 0x42fe0000, v6
	v_cmp_nlt_f32_e64 s5, 0x42fe0000, v17
	;; [unrolled: 1-line block ×11, first 2 shown]
	v_cndmask_b32_e64 v23, 0x42fe0000, v6, s0
	v_cmp_ngt_f32_e64 s0, 0xc3000000, v6
	v_cndmask_b32_e64 v6, 0x42fe0000, v15, s1
	v_cmp_ngt_f32_e64 s1, 0xc3000000, v15
	;; [unrolled: 2-line block ×15, first 2 shown]
	v_cmp_ngt_f32_e64 s15, 0xc3000000, v14
	v_cndmask_b32_e64 v14, 0xc3000000, v23, s0
	v_cndmask_b32_e64 v6, 0xc3000000, v6, s1
	;; [unrolled: 1-line block ×16, first 2 shown]
	v_cvt_i32_f32_e32 v13, v13
	v_cvt_i32_f32_e32 v14, v14
	;; [unrolled: 1-line block ×16, first 2 shown]
	v_lshlrev_b16 v20, 8, v20
	v_and_b32_e32 v11, 0xff, v11
	v_lshlrev_b16 v21, 8, v21
	v_and_b32_e32 v12, 0xff, v12
	;; [unrolled: 2-line block ×8, first 2 shown]
	v_or_b32_e32 v11, v11, v20
	v_or_b32_e32 v12, v12, v21
	;; [unrolled: 1-line block ×8, first 2 shown]
	v_and_b32_e32 v11, 0xffff, v11
	v_lshlrev_b32_e32 v12, 16, v12
	v_and_b32_e32 v14, 0xffff, v9
	v_lshlrev_b32_e32 v10, 16, v10
	;; [unrolled: 2-line block ×4, first 2 shown]
	v_or_b32_e32 v9, v11, v12
	v_or_b32_e32 v8, v14, v10
	;; [unrolled: 1-line block ×3, first 2 shown]
	v_cmp_le_i32_e32 vcc_lo, s24, v0
	v_or_b32_e32 v6, v13, v6
	s_or_b32 s16, vcc_lo, s16
	global_store_b128 v[1:2], v[6:9], off
	v_add_co_u32 v1, s0, v1, s20
	s_delay_alu instid0(VALU_DEP_1)
	v_add_co_ci_u32_e64 v2, s0, 0, v2, s0
	s_and_not1_b32 exec_lo, exec_lo, s16
	s_cbranch_execnz .LBB10_50
.LBB10_51:
	s_nop 0
	s_sendmsg sendmsg(MSG_DEALLOC_VGPRS)
	s_endpgm
	.section	.rodata,"a",@progbits
	.p2align	6, 0x0
	.amdhsa_kernel _ZN4vllm32dynamic_scaled_int8_quant_kernelIN3c108BFloat16EfEEvPKT_PaPT0_i
		.amdhsa_group_segment_fixed_size 36
		.amdhsa_private_segment_fixed_size 0
		.amdhsa_kernarg_size 288
		.amdhsa_user_sgpr_count 15
		.amdhsa_user_sgpr_dispatch_ptr 0
		.amdhsa_user_sgpr_queue_ptr 0
		.amdhsa_user_sgpr_kernarg_segment_ptr 1
		.amdhsa_user_sgpr_dispatch_id 0
		.amdhsa_user_sgpr_private_segment_size 0
		.amdhsa_wavefront_size32 1
		.amdhsa_uses_dynamic_stack 0
		.amdhsa_enable_private_segment 0
		.amdhsa_system_sgpr_workgroup_id_x 1
		.amdhsa_system_sgpr_workgroup_id_y 0
		.amdhsa_system_sgpr_workgroup_id_z 0
		.amdhsa_system_sgpr_workgroup_info 0
		.amdhsa_system_vgpr_workitem_id 0
		.amdhsa_next_free_vgpr 26
		.amdhsa_next_free_sgpr 39
		.amdhsa_reserve_vcc 1
		.amdhsa_float_round_mode_32 0
		.amdhsa_float_round_mode_16_64 0
		.amdhsa_float_denorm_mode_32 3
		.amdhsa_float_denorm_mode_16_64 3
		.amdhsa_dx10_clamp 1
		.amdhsa_ieee_mode 1
		.amdhsa_fp16_overflow 0
		.amdhsa_workgroup_processor_mode 1
		.amdhsa_memory_ordered 1
		.amdhsa_forward_progress 0
		.amdhsa_shared_vgpr_count 0
		.amdhsa_exception_fp_ieee_invalid_op 0
		.amdhsa_exception_fp_denorm_src 0
		.amdhsa_exception_fp_ieee_div_zero 0
		.amdhsa_exception_fp_ieee_overflow 0
		.amdhsa_exception_fp_ieee_underflow 0
		.amdhsa_exception_fp_ieee_inexact 0
		.amdhsa_exception_int_div_zero 0
	.end_amdhsa_kernel
	.section	.text._ZN4vllm32dynamic_scaled_int8_quant_kernelIN3c108BFloat16EfEEvPKT_PaPT0_i,"axG",@progbits,_ZN4vllm32dynamic_scaled_int8_quant_kernelIN3c108BFloat16EfEEvPKT_PaPT0_i,comdat
.Lfunc_end10:
	.size	_ZN4vllm32dynamic_scaled_int8_quant_kernelIN3c108BFloat16EfEEvPKT_PaPT0_i, .Lfunc_end10-_ZN4vllm32dynamic_scaled_int8_quant_kernelIN3c108BFloat16EfEEvPKT_PaPT0_i
                                        ; -- End function
	.section	.AMDGPU.csdata,"",@progbits
; Kernel info:
; codeLenInByte = 6824
; NumSgprs: 41
; NumVgprs: 26
; ScratchSize: 0
; MemoryBound: 0
; FloatMode: 240
; IeeeMode: 1
; LDSByteSize: 36 bytes/workgroup (compile time only)
; SGPRBlocks: 5
; VGPRBlocks: 3
; NumSGPRsForWavesPerEU: 41
; NumVGPRsForWavesPerEU: 26
; Occupancy: 16
; WaveLimiterHint : 0
; COMPUTE_PGM_RSRC2:SCRATCH_EN: 0
; COMPUTE_PGM_RSRC2:USER_SGPR: 15
; COMPUTE_PGM_RSRC2:TRAP_HANDLER: 0
; COMPUTE_PGM_RSRC2:TGID_X_EN: 1
; COMPUTE_PGM_RSRC2:TGID_Y_EN: 0
; COMPUTE_PGM_RSRC2:TGID_Z_EN: 0
; COMPUTE_PGM_RSRC2:TIDIG_COMP_CNT: 0
	.section	.text._ZN4vllm36dynamic_scaled_int8_azp_quant_kernelIN3c108BFloat16EfiEEvPKT_PaPT0_PT1_i,"axG",@progbits,_ZN4vllm36dynamic_scaled_int8_azp_quant_kernelIN3c108BFloat16EfiEEvPKT_PaPT0_PT1_i,comdat
	.protected	_ZN4vllm36dynamic_scaled_int8_azp_quant_kernelIN3c108BFloat16EfiEEvPKT_PaPT0_PT1_i ; -- Begin function _ZN4vllm36dynamic_scaled_int8_azp_quant_kernelIN3c108BFloat16EfiEEvPKT_PaPT0_PT1_i
	.globl	_ZN4vllm36dynamic_scaled_int8_azp_quant_kernelIN3c108BFloat16EfiEEvPKT_PaPT0_PT1_i
	.p2align	8
	.type	_ZN4vllm36dynamic_scaled_int8_azp_quant_kernelIN3c108BFloat16EfiEEvPKT_PaPT0_PT1_i,@function
_ZN4vllm36dynamic_scaled_int8_azp_quant_kernelIN3c108BFloat16EfiEEvPKT_PaPT0_PT1_i: ; @_ZN4vllm36dynamic_scaled_int8_azp_quant_kernelIN3c108BFloat16EfiEEvPKT_PaPT0_PT1_i
; %bb.0:
	s_clause 0x2
	s_load_b32 s49, s[0:1], 0x20
	s_load_b32 s2, s[0:1], 0x34
	s_load_b64 s[34:35], s[0:1], 0x0
	s_mov_b32 s5, 0
	s_mov_b32 s4, s15
	s_waitcnt lgkmcnt(0)
	s_ashr_i32 s3, s49, 31
	s_mul_hi_u32 s6, s49, s15
	s_mul_i32 s3, s3, s15
	s_mul_i32 s36, s49, s15
	s_add_i32 s37, s6, s3
	s_and_b32 s31, s2, 0xffff
	s_lshl_b64 s[38:39], s[36:37], 1
	s_mov_b32 s3, s5
	s_add_u32 s33, s34, s38
	s_addc_u32 s48, s35, s39
	s_and_b32 s2, s33, 31
	s_delay_alu instid0(SALU_CYCLE_1) | instskip(SKIP_2) | instid1(SALU_CYCLE_1)
	s_cmp_lg_u64 s[2:3], 0
	s_cselect_b32 s2, -1, 0
	s_and_b32 s3, s49, 15
	s_cmp_lg_u32 s3, 0
	s_cselect_b32 s3, -1, 0
	s_delay_alu instid0(SALU_CYCLE_1) | instskip(NEXT) | instid1(SALU_CYCLE_1)
	s_or_b32 s3, s3, s2
	s_and_b32 vcc_lo, exec_lo, s3
	s_cbranch_vccz .LBB11_14
; %bb.1:
	s_sub_i32 s2, 0, s33
	v_mov_b32_e32 v1, 0x7f7fffff
	v_mov_b32_e32 v2, 0xff7fffff
	s_bfe_u32 s2, s2, 0x40001
	s_mov_b32 s7, exec_lo
	s_min_i32 s6, s2, s49
	s_delay_alu instid0(SALU_CYCLE_1)
	v_cmpx_gt_i32_e64 s6, v0
	s_cbranch_execz .LBB11_5
; %bb.2:
	v_dual_mov_b32 v2, 0xff7fffff :: v_dual_lshlrev_b32 v1, 1, v0
	s_add_u32 s2, s34, s38
	s_addc_u32 s8, s35, s39
	v_mov_b32_e32 v5, v0
	s_delay_alu instid0(VALU_DEP_2) | instskip(NEXT) | instid1(VALU_DEP_1)
	v_add_co_u32 v3, s2, s2, v1
	v_add_co_ci_u32_e64 v4, null, s8, 0, s2
	v_mov_b32_e32 v1, 0x7f7fffff
	s_mov_b32 s8, 0
	s_lshl_b32 s9, s31, 1
	.p2align	6
.LBB11_3:                               ; =>This Inner Loop Header: Depth=1
	global_load_u16 v6, v[3:4], off
	v_dual_max_f32 v1, v1, v1 :: v_dual_max_f32 v2, v2, v2
	v_add_co_u32 v3, vcc_lo, v3, s9
	v_add_co_ci_u32_e32 v4, vcc_lo, 0, v4, vcc_lo
	s_waitcnt vmcnt(0)
	v_lshlrev_b32_e32 v6, 16, v6
	s_delay_alu instid0(VALU_DEP_1) | instskip(NEXT) | instid1(VALU_DEP_1)
	v_dual_max_f32 v6, v6, v6 :: v_dual_add_nc_u32 v5, s31, v5
	v_cmp_le_i32_e64 s2, s6, v5
	s_delay_alu instid0(VALU_DEP_2) | instskip(SKIP_1) | instid1(VALU_DEP_3)
	v_min_f32_e32 v1, v1, v6
	v_max_f32_e32 v2, v2, v6
	s_or_b32 s8, s2, s8
	s_delay_alu instid0(SALU_CYCLE_1)
	s_and_not1_b32 exec_lo, exec_lo, s8
	s_cbranch_execnz .LBB11_3
; %bb.4:
	s_or_b32 exec_lo, exec_lo, s8
.LBB11_5:
	s_delay_alu instid0(SALU_CYCLE_1)
	s_or_b32 exec_lo, exec_lo, s7
	s_sub_i32 s8, s49, s6
	s_ashr_i32 s7, s6, 31
	s_ashr_i32 s2, s8, 31
	s_mov_b32 s10, exec_lo
	s_lshr_b32 s2, s2, 28
	s_delay_alu instid0(SALU_CYCLE_1) | instskip(NEXT) | instid1(SALU_CYCLE_1)
	s_add_i32 s2, s8, s2
	s_ashr_i32 s9, s2, 4
	s_delay_alu instid0(SALU_CYCLE_1)
	v_cmpx_gt_i32_e64 s9, v0
	s_cbranch_execz .LBB11_9
; %bb.6:
	s_lshl_b64 s[12:13], s[6:7], 1
	v_lshlrev_b32_e32 v3, 5, v0
	s_add_u32 s2, s34, s12
	s_addc_u32 s11, s35, s13
	s_add_u32 s2, s2, s38
	s_addc_u32 s11, s11, s39
	v_add_co_u32 v3, s2, s2, v3
	s_delay_alu instid0(VALU_DEP_1)
	v_add_co_ci_u32_e64 v4, null, s11, 0, s2
	v_mov_b32_e32 v5, v0
	s_mov_b32 s11, 0
	s_lshl_b32 s12, s31, 5
.LBB11_7:                               ; =>This Inner Loop Header: Depth=1
	s_clause 0x1
	global_load_b128 v[6:9], v[3:4], off
	global_load_b128 v[10:13], v[3:4], off offset:16
	v_add_nc_u32_e32 v5, s31, v5
	v_add_co_u32 v3, vcc_lo, v3, s12
	v_add_co_ci_u32_e32 v4, vcc_lo, 0, v4, vcc_lo
	s_delay_alu instid0(VALU_DEP_3) | instskip(NEXT) | instid1(VALU_DEP_1)
	v_cmp_le_i32_e64 s2, s9, v5
	s_or_b32 s11, s2, s11
	s_waitcnt vmcnt(1)
	v_lshlrev_b32_e32 v14, 16, v6
	v_and_b32_e32 v6, 0xffff0000, v6
	v_lshlrev_b32_e32 v15, 16, v7
	v_and_b32_e32 v7, 0xffff0000, v7
	s_delay_alu instid0(VALU_DEP_3) | instskip(SKIP_3) | instid1(VALU_DEP_4)
	v_min3_f32 v1, v1, v14, v6
	v_max3_f32 v2, v2, v14, v6
	v_lshlrev_b32_e32 v6, 16, v8
	v_and_b32_e32 v8, 0xffff0000, v8
	v_min3_f32 v1, v1, v15, v7
	s_delay_alu instid0(VALU_DEP_4) | instskip(SKIP_2) | instid1(VALU_DEP_4)
	v_max3_f32 v2, v2, v15, v7
	v_lshlrev_b32_e32 v7, 16, v9
	v_and_b32_e32 v9, 0xffff0000, v9
	v_min3_f32 v1, v1, v6, v8
	s_delay_alu instid0(VALU_DEP_4)
	v_max3_f32 v2, v2, v6, v8
	s_waitcnt vmcnt(0)
	v_lshlrev_b32_e32 v6, 16, v10
	v_and_b32_e32 v8, 0xffff0000, v10
	v_min3_f32 v1, v1, v7, v9
	v_max3_f32 v2, v2, v7, v9
	v_lshlrev_b32_e32 v7, 16, v11
	v_and_b32_e32 v9, 0xffff0000, v11
	s_delay_alu instid0(VALU_DEP_4) | instskip(NEXT) | instid1(VALU_DEP_4)
	v_min3_f32 v1, v1, v6, v8
	v_max3_f32 v2, v2, v6, v8
	v_lshlrev_b32_e32 v6, 16, v12
	v_and_b32_e32 v8, 0xffff0000, v12
	s_delay_alu instid0(VALU_DEP_4) | instskip(NEXT) | instid1(VALU_DEP_4)
	;; [unrolled: 5-line block ×3, first 2 shown]
	v_min3_f32 v1, v1, v6, v8
	v_max3_f32 v2, v2, v6, v8
	s_delay_alu instid0(VALU_DEP_2) | instskip(NEXT) | instid1(VALU_DEP_2)
	v_min3_f32 v1, v1, v7, v9
	v_max3_f32 v2, v2, v7, v9
	s_and_not1_b32 exec_lo, exec_lo, s11
	s_cbranch_execnz .LBB11_7
; %bb.8:
	s_or_b32 exec_lo, exec_lo, s11
.LBB11_9:
	s_delay_alu instid0(SALU_CYCLE_1) | instskip(SKIP_2) | instid1(VALU_DEP_1)
	s_or_b32 exec_lo, exec_lo, s10
	v_lshl_add_u32 v3, s9, 4, v0
	s_mov_b32 s9, exec_lo
	v_cmpx_gt_i32_e64 s8, v3
	s_cbranch_execz .LBB11_13
; %bb.10:
	v_ashrrev_i32_e32 v4, 31, v3
	s_lshl_b64 s[6:7], s[6:7], 1
	s_delay_alu instid0(SALU_CYCLE_1) | instskip(SKIP_1) | instid1(VALU_DEP_1)
	s_add_u32 s2, s38, s6
	s_addc_u32 s6, s39, s7
	v_lshlrev_b64 v[4:5], 1, v[3:4]
	s_add_u32 s2, s34, s2
	s_addc_u32 s6, s35, s6
	s_lshl_b32 s7, s31, 1
	s_delay_alu instid0(VALU_DEP_1) | instskip(NEXT) | instid1(VALU_DEP_2)
	v_add_co_u32 v4, vcc_lo, s2, v4
	v_add_co_ci_u32_e32 v5, vcc_lo, s6, v5, vcc_lo
	s_mov_b32 s6, 0
	.p2align	6
.LBB11_11:                              ; =>This Inner Loop Header: Depth=1
	global_load_u16 v6, v[4:5], off
	v_dual_max_f32 v1, v1, v1 :: v_dual_max_f32 v2, v2, v2
	v_add_co_u32 v4, vcc_lo, v4, s7
	v_add_co_ci_u32_e32 v5, vcc_lo, 0, v5, vcc_lo
	s_waitcnt vmcnt(0)
	v_lshlrev_b32_e32 v6, 16, v6
	s_delay_alu instid0(VALU_DEP_1) | instskip(NEXT) | instid1(VALU_DEP_1)
	v_dual_max_f32 v6, v6, v6 :: v_dual_add_nc_u32 v3, s31, v3
	v_cmp_le_i32_e64 s2, s8, v3
	s_delay_alu instid0(VALU_DEP_2) | instskip(SKIP_1) | instid1(VALU_DEP_3)
	v_min_f32_e32 v1, v1, v6
	v_max_f32_e32 v2, v2, v6
	s_or_b32 s6, s2, s6
	s_delay_alu instid0(SALU_CYCLE_1)
	s_and_not1_b32 exec_lo, exec_lo, s6
	s_cbranch_execnz .LBB11_11
; %bb.12:
	s_or_b32 exec_lo, exec_lo, s6
.LBB11_13:
	s_delay_alu instid0(SALU_CYCLE_1)
	s_or_b32 exec_lo, exec_lo, s9
	s_branch .LBB11_20
.LBB11_14:
                                        ; implicit-def: $vgpr1
	s_cbranch_execz .LBB11_20
; %bb.15:
	v_mov_b32_e32 v1, 0x7f7fffff
	v_mov_b32_e32 v2, 0xff7fffff
	s_ashr_i32 s6, s49, 4
	s_mov_b32 s7, exec_lo
	v_cmpx_gt_i32_e64 s6, v0
	s_cbranch_execz .LBB11_19
; %bb.16:
	v_dual_mov_b32 v2, 0xff7fffff :: v_dual_lshlrev_b32 v1, 5, v0
	s_add_u32 s2, s34, s38
	s_addc_u32 s8, s35, s39
	v_mov_b32_e32 v5, v0
	s_delay_alu instid0(VALU_DEP_2) | instskip(NEXT) | instid1(VALU_DEP_1)
	v_add_co_u32 v3, s2, s2, v1
	v_add_co_ci_u32_e64 v4, null, s8, 0, s2
	v_mov_b32_e32 v1, 0x7f7fffff
	s_mov_b32 s8, 0
	s_lshl_b32 s9, s31, 5
.LBB11_17:                              ; =>This Inner Loop Header: Depth=1
	s_clause 0x1
	global_load_b128 v[6:9], v[3:4], off
	global_load_b128 v[10:13], v[3:4], off offset:16
	v_add_nc_u32_e32 v5, s31, v5
	v_add_co_u32 v3, vcc_lo, v3, s9
	v_add_co_ci_u32_e32 v4, vcc_lo, 0, v4, vcc_lo
	s_delay_alu instid0(VALU_DEP_3) | instskip(NEXT) | instid1(VALU_DEP_1)
	v_cmp_le_i32_e64 s2, s6, v5
	s_or_b32 s8, s2, s8
	s_waitcnt vmcnt(1)
	v_lshlrev_b32_e32 v14, 16, v6
	v_and_b32_e32 v6, 0xffff0000, v6
	v_lshlrev_b32_e32 v15, 16, v7
	v_and_b32_e32 v7, 0xffff0000, v7
	s_delay_alu instid0(VALU_DEP_3) | instskip(SKIP_3) | instid1(VALU_DEP_4)
	v_min3_f32 v1, v1, v14, v6
	v_max3_f32 v2, v2, v14, v6
	v_lshlrev_b32_e32 v6, 16, v8
	v_and_b32_e32 v8, 0xffff0000, v8
	v_min3_f32 v1, v1, v15, v7
	s_delay_alu instid0(VALU_DEP_4) | instskip(SKIP_2) | instid1(VALU_DEP_4)
	v_max3_f32 v2, v2, v15, v7
	v_lshlrev_b32_e32 v7, 16, v9
	v_and_b32_e32 v9, 0xffff0000, v9
	v_min3_f32 v1, v1, v6, v8
	s_delay_alu instid0(VALU_DEP_4)
	v_max3_f32 v2, v2, v6, v8
	s_waitcnt vmcnt(0)
	v_lshlrev_b32_e32 v6, 16, v10
	v_and_b32_e32 v8, 0xffff0000, v10
	v_min3_f32 v1, v1, v7, v9
	v_max3_f32 v2, v2, v7, v9
	v_lshlrev_b32_e32 v7, 16, v11
	v_and_b32_e32 v9, 0xffff0000, v11
	s_delay_alu instid0(VALU_DEP_4) | instskip(NEXT) | instid1(VALU_DEP_4)
	v_min3_f32 v1, v1, v6, v8
	v_max3_f32 v2, v2, v6, v8
	v_lshlrev_b32_e32 v6, 16, v12
	v_and_b32_e32 v8, 0xffff0000, v12
	s_delay_alu instid0(VALU_DEP_4) | instskip(NEXT) | instid1(VALU_DEP_4)
	;; [unrolled: 5-line block ×3, first 2 shown]
	v_min3_f32 v1, v1, v6, v8
	v_max3_f32 v2, v2, v6, v8
	s_delay_alu instid0(VALU_DEP_2) | instskip(NEXT) | instid1(VALU_DEP_2)
	v_min3_f32 v1, v1, v7, v9
	v_max3_f32 v2, v2, v7, v9
	s_and_not1_b32 exec_lo, exec_lo, s8
	s_cbranch_execnz .LBB11_17
; %bb.18:
	s_or_b32 exec_lo, exec_lo, s8
.LBB11_19:
	s_delay_alu instid0(SALU_CYCLE_1)
	s_or_b32 exec_lo, exec_lo, s7
.LBB11_20:
	v_mbcnt_lo_u32_b32 v3, -1, 0
	s_mov_b32 s2, exec_lo
	s_delay_alu instid0(VALU_DEP_1) | instskip(SKIP_2) | instid1(VALU_DEP_1)
	v_cmp_ne_u32_e32 vcc_lo, 31, v3
	v_add_nc_u32_e32 v7, 1, v3
	v_add_co_ci_u32_e32 v4, vcc_lo, 0, v3, vcc_lo
	v_lshlrev_b32_e32 v4, 2, v4
	ds_bpermute_b32 v6, v4, v1
	ds_bpermute_b32 v5, v4, v2
	v_and_b32_e32 v4, 0x3e0, v0
	s_delay_alu instid0(VALU_DEP_1) | instskip(NEXT) | instid1(VALU_DEP_1)
	v_sub_nc_u32_e64 v4, s31, v4 clamp
	v_cmpx_lt_u32_e64 v7, v4
	s_cbranch_execz .LBB11_22
; %bb.21:
	s_waitcnt lgkmcnt(1)
	v_dual_max_f32 v6, v6, v6 :: v_dual_max_f32 v1, v1, v1
	s_waitcnt lgkmcnt(0)
	v_dual_max_f32 v5, v5, v5 :: v_dual_max_f32 v2, v2, v2
	s_delay_alu instid0(VALU_DEP_1)
	v_dual_min_f32 v1, v1, v6 :: v_dual_max_f32 v2, v2, v5
.LBB11_22:
	s_or_b32 exec_lo, exec_lo, s2
	v_cmp_gt_u32_e32 vcc_lo, 30, v3
	v_add_nc_u32_e32 v7, 2, v3
	s_mov_b32 s2, exec_lo
	s_waitcnt lgkmcnt(0)
	v_cndmask_b32_e64 v5, 0, 1, vcc_lo
	s_delay_alu instid0(VALU_DEP_1) | instskip(NEXT) | instid1(VALU_DEP_1)
	v_lshlrev_b32_e32 v5, 1, v5
	v_add_lshl_u32 v5, v5, v3, 2
	ds_bpermute_b32 v6, v5, v1
	ds_bpermute_b32 v5, v5, v2
	v_cmpx_lt_u32_e64 v7, v4
	s_cbranch_execz .LBB11_24
; %bb.23:
	s_waitcnt lgkmcnt(1)
	v_dual_max_f32 v6, v6, v6 :: v_dual_max_f32 v1, v1, v1
	s_waitcnt lgkmcnt(0)
	v_dual_max_f32 v5, v5, v5 :: v_dual_max_f32 v2, v2, v2
	s_delay_alu instid0(VALU_DEP_1)
	v_dual_min_f32 v1, v1, v6 :: v_dual_max_f32 v2, v2, v5
.LBB11_24:
	s_or_b32 exec_lo, exec_lo, s2
	v_cmp_gt_u32_e32 vcc_lo, 28, v3
	v_add_nc_u32_e32 v7, 4, v3
	s_mov_b32 s2, exec_lo
	s_waitcnt lgkmcnt(0)
	v_cndmask_b32_e64 v5, 0, 1, vcc_lo
	s_delay_alu instid0(VALU_DEP_1) | instskip(NEXT) | instid1(VALU_DEP_1)
	v_lshlrev_b32_e32 v5, 2, v5
	v_add_lshl_u32 v5, v5, v3, 2
	ds_bpermute_b32 v6, v5, v1
	ds_bpermute_b32 v5, v5, v2
	;; [unrolled: 21-line block ×4, first 2 shown]
	v_cmpx_lt_u32_e64 v7, v4
	s_cbranch_execz .LBB11_30
; %bb.29:
	s_waitcnt lgkmcnt(1)
	v_dual_max_f32 v4, v6, v6 :: v_dual_max_f32 v1, v1, v1
	s_waitcnt lgkmcnt(0)
	v_dual_max_f32 v5, v5, v5 :: v_dual_max_f32 v2, v2, v2
	s_delay_alu instid0(VALU_DEP_1)
	v_dual_min_f32 v1, v1, v4 :: v_dual_max_f32 v2, v2, v5
.LBB11_30:
	s_or_b32 exec_lo, exec_lo, s2
	s_delay_alu instid0(SALU_CYCLE_1)
	s_mov_b32 s2, exec_lo
	v_cmpx_eq_u32_e32 0, v3
	s_cbranch_execz .LBB11_32
; %bb.31:
	v_lshrrev_b32_e32 v4, 2, v0
	s_delay_alu instid0(VALU_DEP_1)
	v_and_b32_e32 v4, 0xf8, v4
	ds_store_2addr_b32 v4, v1, v2 offset1:1
.LBB11_32:
	s_or_b32 exec_lo, exec_lo, s2
	s_load_b64 s[40:41], s[0:1], 0x8
	s_mov_b32 s2, exec_lo
	s_waitcnt lgkmcnt(0)
	s_barrier
	buffer_gl0_inv
	v_cmpx_gt_u32_e32 8, v0
	s_cbranch_execz .LBB11_40
; %bb.33:
	v_lshlrev_b32_e32 v1, 3, v3
	v_and_b32_e32 v4, 7, v3
	s_add_i32 s6, s31, 31
	s_mov_b32 s7, exec_lo
	s_lshr_b32 s6, s6, 5
	ds_load_2addr_b32 v[1:2], v1 offset1:1
	v_cmp_ne_u32_e32 vcc_lo, 7, v4
	v_add_nc_u32_e32 v7, 1, v4
	v_add_co_ci_u32_e32 v5, vcc_lo, 0, v3, vcc_lo
	s_delay_alu instid0(VALU_DEP_1)
	v_lshlrev_b32_e32 v5, 2, v5
	s_waitcnt lgkmcnt(0)
	ds_bpermute_b32 v6, v5, v1
	ds_bpermute_b32 v5, v5, v2
	v_cmpx_gt_u32_e64 s6, v7
	s_cbranch_execz .LBB11_35
; %bb.34:
	s_waitcnt lgkmcnt(1)
	v_dual_max_f32 v6, v6, v6 :: v_dual_max_f32 v1, v1, v1
	s_waitcnt lgkmcnt(0)
	v_dual_max_f32 v5, v5, v5 :: v_dual_max_f32 v2, v2, v2
	s_delay_alu instid0(VALU_DEP_1)
	v_dual_min_f32 v1, v1, v6 :: v_dual_max_f32 v2, v2, v5
.LBB11_35:
	s_or_b32 exec_lo, exec_lo, s7
	v_cmp_gt_u32_e32 vcc_lo, 6, v4
	v_add_nc_u32_e32 v7, 2, v4
	s_mov_b32 s7, exec_lo
	s_waitcnt lgkmcnt(0)
	v_cndmask_b32_e64 v5, 0, 1, vcc_lo
	s_delay_alu instid0(VALU_DEP_1) | instskip(NEXT) | instid1(VALU_DEP_1)
	v_lshlrev_b32_e32 v5, 1, v5
	v_add_lshl_u32 v5, v5, v3, 2
	ds_bpermute_b32 v6, v5, v1
	ds_bpermute_b32 v5, v5, v2
	v_cmpx_gt_u32_e64 s6, v7
	s_cbranch_execz .LBB11_37
; %bb.36:
	s_waitcnt lgkmcnt(1)
	v_dual_max_f32 v6, v6, v6 :: v_dual_max_f32 v1, v1, v1
	s_waitcnt lgkmcnt(0)
	v_dual_max_f32 v5, v5, v5 :: v_dual_max_f32 v2, v2, v2
	s_delay_alu instid0(VALU_DEP_1)
	v_dual_min_f32 v1, v1, v6 :: v_dual_max_f32 v2, v2, v5
.LBB11_37:
	s_or_b32 exec_lo, exec_lo, s7
	v_cmp_gt_u32_e32 vcc_lo, 4, v4
	v_add_nc_u32_e32 v4, 4, v4
	s_waitcnt lgkmcnt(0)
	v_cndmask_b32_e64 v5, 0, 1, vcc_lo
	s_delay_alu instid0(VALU_DEP_2) | instskip(NEXT) | instid1(VALU_DEP_2)
	v_cmp_gt_u32_e32 vcc_lo, s6, v4
	v_lshlrev_b32_e32 v5, 2, v5
	s_delay_alu instid0(VALU_DEP_1)
	v_add_lshl_u32 v3, v5, v3, 2
	ds_bpermute_b32 v5, v3, v1
	ds_bpermute_b32 v3, v3, v2
	s_and_saveexec_b32 s6, vcc_lo
	s_cbranch_execz .LBB11_39
; %bb.38:
	s_waitcnt lgkmcnt(0)
	v_dual_max_f32 v4, v5, v5 :: v_dual_max_f32 v3, v3, v3
	v_dual_max_f32 v1, v1, v1 :: v_dual_max_f32 v2, v2, v2
	s_delay_alu instid0(VALU_DEP_1)
	v_dual_min_f32 v1, v1, v4 :: v_dual_max_f32 v2, v2, v3
.LBB11_39:
	s_or_b32 exec_lo, exec_lo, s6
.LBB11_40:
	s_delay_alu instid0(SALU_CYCLE_1) | instskip(NEXT) | instid1(SALU_CYCLE_1)
	s_or_b32 exec_lo, exec_lo, s2
	s_mov_b32 s2, exec_lo
	v_cmpx_eq_u32_e32 0, v0
	s_cbranch_execz .LBB11_42
; %bb.41:
	v_sub_f32_e32 v2, v2, v1
	s_load_b128 s[8:11], s[0:1], 0x10
	s_lshl_b64 s[0:1], s[4:5], 2
	s_waitcnt lgkmcnt(0)
	s_delay_alu instid0(VALU_DEP_1) | instskip(SKIP_1) | instid1(VALU_DEP_2)
	v_div_scale_f32 v3, null, 0x437f0000, 0x437f0000, v2
	v_div_scale_f32 v6, vcc_lo, v2, 0x437f0000, v2
	v_rcp_f32_e32 v4, v3
	s_waitcnt_depctr 0xfff
	v_fma_f32 v5, -v3, v4, 1.0
	s_add_u32 s4, s8, s0
	s_addc_u32 s5, s9, s1
	s_add_u32 s0, s10, s0
	s_addc_u32 s1, s11, s1
	v_fmac_f32_e32 v4, v5, v4
	s_delay_alu instid0(VALU_DEP_1) | instskip(NEXT) | instid1(VALU_DEP_1)
	v_mul_f32_e32 v5, v6, v4
	v_fma_f32 v7, -v3, v5, v6
	s_delay_alu instid0(VALU_DEP_1) | instskip(NEXT) | instid1(VALU_DEP_1)
	v_fmac_f32_e32 v5, v7, v4
	v_fma_f32 v3, -v3, v5, v6
	s_delay_alu instid0(VALU_DEP_1) | instskip(NEXT) | instid1(VALU_DEP_1)
	v_div_fmas_f32 v3, v3, v4, v5
	v_div_fixup_f32 v2, v3, 0x437f0000, v2
	s_delay_alu instid0(VALU_DEP_1) | instskip(SKIP_1) | instid1(VALU_DEP_2)
	v_div_scale_f32 v3, null, v2, v2, v1
	v_div_scale_f32 v6, vcc_lo, v1, v2, v1
	v_rcp_f32_e32 v4, v3
	s_waitcnt_depctr 0xfff
	v_fma_f32 v5, -v3, v4, 1.0
	s_delay_alu instid0(VALU_DEP_1) | instskip(NEXT) | instid1(VALU_DEP_1)
	v_fmac_f32_e32 v4, v5, v4
	v_mul_f32_e32 v5, v6, v4
	s_delay_alu instid0(VALU_DEP_1) | instskip(NEXT) | instid1(VALU_DEP_1)
	v_fma_f32 v7, -v3, v5, v6
	v_fmac_f32_e32 v5, v7, v4
	s_delay_alu instid0(VALU_DEP_1) | instskip(NEXT) | instid1(VALU_DEP_1)
	v_fma_f32 v3, -v3, v5, v6
	v_div_fmas_f32 v3, v3, v4, v5
	s_delay_alu instid0(VALU_DEP_1) | instskip(SKIP_1) | instid1(VALU_DEP_2)
	v_div_fixup_f32 v1, v3, v2, v1
	v_mov_b32_e32 v3, 0
	v_sub_f32_e32 v1, 0xc3000000, v1
	s_delay_alu instid0(VALU_DEP_1) | instskip(NEXT) | instid1(VALU_DEP_1)
	v_rndne_f32_e32 v1, v1
	v_cvt_i32_f32_e32 v1, v1
	ds_store_b64 v3, v[1:2] offset:64
	s_clause 0x1
	global_store_b32 v3, v2, s[4:5]
	global_store_b32 v3, v1, s[0:1]
.LBB11_42:
	s_or_b32 exec_lo, exec_lo, s2
	v_mov_b32_e32 v1, 0
	s_waitcnt lgkmcnt(0)
	s_waitcnt_vscnt null, 0x0
	s_barrier
	buffer_gl0_inv
	s_add_u32 s42, s40, s36
	ds_load_b64 v[9:10], v1 offset:64
	s_addc_u32 s43, s41, s37
	s_mov_b32 s0, -1
	s_waitcnt lgkmcnt(0)
	v_div_scale_f32 v1, null, v10, v10, 1.0
	v_div_scale_f32 v4, vcc_lo, 1.0, v10, 1.0
	s_delay_alu instid0(VALU_DEP_2) | instskip(SKIP_2) | instid1(VALU_DEP_1)
	v_rcp_f32_e32 v2, v1
	s_waitcnt_depctr 0xfff
	v_fma_f32 v3, -v1, v2, 1.0
	v_fmac_f32_e32 v2, v3, v2
	s_delay_alu instid0(VALU_DEP_1) | instskip(NEXT) | instid1(VALU_DEP_1)
	v_mul_f32_e32 v3, v4, v2
	v_fma_f32 v5, -v1, v3, v4
	s_delay_alu instid0(VALU_DEP_1) | instskip(NEXT) | instid1(VALU_DEP_1)
	v_fmac_f32_e32 v3, v5, v2
	v_fma_f32 v1, -v1, v3, v4
	s_delay_alu instid0(VALU_DEP_1) | instskip(SKIP_1) | instid1(VALU_DEP_1)
	v_div_fmas_f32 v1, v1, v2, v3
	s_and_b32 vcc_lo, exec_lo, s3
	v_div_fixup_f32 v15, v1, v10, 1.0
	s_cbranch_vccz .LBB11_140
; %bb.43:
	s_sub_i32 s0, 0, s33
	s_mov_b32 s1, exec_lo
	s_bfe_u32 s0, s0, 0x40001
	s_delay_alu instid0(SALU_CYCLE_1) | instskip(NEXT) | instid1(SALU_CYCLE_1)
	s_min_i32 s44, s0, s49
	v_cmpx_gt_i32_e64 s44, v0
	s_cbranch_execz .LBB11_55
; %bb.44:
	v_cvt_f32_u32_e32 v1, s31
	s_sub_i32 s0, 0, s31
	v_add_nc_u32_e32 v3, s31, v0
	s_cmp_eq_u32 s31, 1
	s_mov_b32 s2, -1
	v_rcp_iflag_f32_e32 v1, v1
	s_delay_alu instid0(VALU_DEP_1) | instskip(SKIP_3) | instid1(VALU_DEP_1)
	v_cmp_gt_i32_e32 vcc_lo, s44, v3
	v_max_i32_e32 v4, s44, v3
	s_waitcnt_depctr 0xfff
	v_mul_f32_e32 v1, 0x4f7ffffe, v1
	v_cvt_u32_f32_e32 v1, v1
	s_delay_alu instid0(VALU_DEP_1) | instskip(SKIP_1) | instid1(VALU_DEP_1)
	v_mul_lo_u32 v2, s0, v1
	v_add_co_ci_u32_e64 v3, s0, s31, v0, vcc_lo
	v_sub_nc_u32_e32 v3, v4, v3
	s_delay_alu instid0(VALU_DEP_3) | instskip(NEXT) | instid1(VALU_DEP_1)
	v_mul_hi_u32 v2, v1, v2
	v_add_nc_u32_e32 v1, v1, v2
	s_delay_alu instid0(VALU_DEP_1) | instskip(NEXT) | instid1(VALU_DEP_1)
	v_mul_hi_u32 v1, v3, v1
	v_mul_lo_u32 v2, v1, s31
	s_delay_alu instid0(VALU_DEP_1) | instskip(SKIP_1) | instid1(VALU_DEP_2)
	v_sub_nc_u32_e32 v2, v3, v2
	v_add_nc_u32_e32 v3, 1, v1
	v_subrev_nc_u32_e32 v4, s31, v2
	v_cmp_le_u32_e64 s0, s31, v2
	s_delay_alu instid0(VALU_DEP_1) | instskip(NEXT) | instid1(VALU_DEP_3)
	v_cndmask_b32_e64 v1, v1, v3, s0
	v_cndmask_b32_e64 v2, v2, v4, s0
	s_delay_alu instid0(VALU_DEP_2) | instskip(NEXT) | instid1(VALU_DEP_2)
	v_add_nc_u32_e32 v3, 1, v1
	v_cmp_le_u32_e64 s0, s31, v2
	s_delay_alu instid0(VALU_DEP_1) | instskip(SKIP_1) | instid1(VALU_DEP_1)
	v_cndmask_b32_e64 v1, v1, v3, s0
	s_cselect_b32 s0, -1, 0
	v_add_co_ci_u32_e32 v3, vcc_lo, 1, v1, vcc_lo
	v_mov_b32_e32 v1, v0
	s_delay_alu instid0(VALU_DEP_2) | instskip(SKIP_1) | instid1(SALU_CYCLE_1)
	v_cmp_lt_u32_e32 vcc_lo, 1, v3
	s_and_b32 s3, vcc_lo, s0
	s_and_saveexec_b32 s0, s3
	s_cbranch_execz .LBB11_48
; %bb.45:
	v_dual_mov_b32 v5, v9 :: v_dual_and_b32 v4, -2, v3
	v_dual_mov_b32 v2, 0 :: v_dual_mov_b32 v1, v0
	s_mov_b32 s2, 0
	s_delay_alu instid0(VALU_DEP_2)
	v_mov_b32_e32 v6, v4
	s_movk_i32 s3, 0xff80
.LBB11_46:                              ; =>This Inner Loop Header: Depth=1
	s_delay_alu instid0(VALU_DEP_1) | instskip(NEXT) | instid1(VALU_DEP_2)
	v_lshlrev_b64 v[7:8], 1, v[1:2]
	v_add_nc_u32_e32 v6, -2, v6
	s_delay_alu instid0(VALU_DEP_2) | instskip(NEXT) | instid1(VALU_DEP_3)
	v_add_co_u32 v7, vcc_lo, s33, v7
	v_add_co_ci_u32_e32 v8, vcc_lo, s48, v8, vcc_lo
	global_load_b32 v7, v[7:8], off
	s_waitcnt vmcnt(0)
	v_and_b32_e32 v8, 0xffff0000, v7
	s_delay_alu instid0(VALU_DEP_1) | instskip(NEXT) | instid1(VALU_DEP_1)
	v_dual_mul_f32 v8, v15, v8 :: v_dual_lshlrev_b32 v7, 16, v7
	v_rndne_f32_e32 v8, v8
	s_delay_alu instid0(VALU_DEP_1) | instskip(NEXT) | instid1(VALU_DEP_3)
	v_cmp_nge_f32_e32 vcc_lo, 0xcf000000, v8
	v_dual_mul_f32 v7, v15, v7 :: v_dual_cndmask_b32 v10, 0xcf000000, v8
	s_delay_alu instid0(VALU_DEP_1) | instskip(NEXT) | instid1(VALU_DEP_2)
	v_rndne_f32_e32 v7, v7
	v_cvt_i32_f32_e32 v10, v10
	s_delay_alu instid0(VALU_DEP_2) | instskip(SKIP_2) | instid1(VALU_DEP_4)
	v_cmp_nge_f32_e32 vcc_lo, 0xcf000000, v7
	v_cndmask_b32_e32 v11, 0xcf000000, v7, vcc_lo
	v_cmp_nle_f32_e32 vcc_lo, 0x4f000000, v8
	v_cndmask_b32_e32 v8, 0x7fffffff, v10, vcc_lo
	v_cmp_nle_f32_e32 vcc_lo, 0x4f000000, v7
	s_delay_alu instid0(VALU_DEP_2) | instskip(SKIP_1) | instid1(VALU_DEP_2)
	v_add_nc_u32_e32 v8, v8, v5
	v_cvt_i32_f32_e32 v11, v11
	v_med3_i32 v8, v8, s3, 0x7f
	s_delay_alu instid0(VALU_DEP_2) | instskip(SKIP_1) | instid1(VALU_DEP_3)
	v_cndmask_b32_e32 v7, 0x7fffffff, v11, vcc_lo
	v_cmp_eq_u32_e32 vcc_lo, 0, v6
	v_lshlrev_b16 v8, 8, v8
	s_delay_alu instid0(VALU_DEP_3) | instskip(SKIP_1) | instid1(VALU_DEP_1)
	v_add_nc_u32_e32 v7, v7, v9
	s_or_b32 s2, vcc_lo, s2
	v_med3_i32 v7, v7, s3, 0x7f
	s_delay_alu instid0(VALU_DEP_1) | instskip(NEXT) | instid1(VALU_DEP_1)
	v_and_b32_e32 v7, 0xff, v7
	v_or_b32_e32 v7, v7, v8
	global_store_b16 v1, v7, s[42:43]
	v_add_nc_u32_e32 v1, 2, v1
	s_and_not1_b32 exec_lo, exec_lo, s2
	s_cbranch_execnz .LBB11_46
; %bb.47:
	s_or_b32 exec_lo, exec_lo, s2
	v_cmp_ne_u32_e32 vcc_lo, v3, v4
	v_add_nc_u32_e32 v1, v0, v4
	s_or_not1_b32 s2, vcc_lo, exec_lo
.LBB11_48:
	s_or_b32 exec_lo, exec_lo, s0
	s_delay_alu instid0(SALU_CYCLE_1)
	s_and_b32 exec_lo, exec_lo, s2
	s_cbranch_execz .LBB11_55
; %bb.49:
	v_mov_b32_e32 v2, 0
	s_add_u32 s0, s40, s36
	s_addc_u32 s2, s41, s37
	v_add_co_u32 v4, s0, s0, v1
	s_delay_alu instid0(VALU_DEP_2) | instskip(SKIP_4) | instid1(VALU_DEP_2)
	v_lshlrev_b64 v[2:3], 1, v[1:2]
	v_add_co_ci_u32_e64 v5, null, s2, 0, s0
	s_add_u32 s0, s34, s38
	s_addc_u32 s2, s35, s39
	s_mov_b32 s4, 0
	v_add_co_u32 v2, vcc_lo, s0, v2
	v_add_co_ci_u32_e32 v3, vcc_lo, s2, v3, vcc_lo
	s_lshl_b32 s5, s31, 1
	s_mov_b64 s[2:3], 0
	s_movk_i32 s6, 0xff80
	s_set_inst_prefetch_distance 0x1
	s_branch .LBB11_52
	.p2align	6
.LBB11_50:                              ;   in Loop: Header=BB11_52 Depth=1
	s_or_b32 exec_lo, exec_lo, s7
.LBB11_51:                              ;   in Loop: Header=BB11_52 Depth=1
	s_delay_alu instid0(SALU_CYCLE_1)
	s_or_b32 exec_lo, exec_lo, s0
	v_add_co_u32 v7, vcc_lo, v4, s2
	s_add_u32 s2, s2, s31
	v_add_nc_u32_e32 v6, v6, v9
	v_add_nc_u32_e32 v10, s2, v1
	v_add_co_ci_u32_e32 v8, vcc_lo, s3, v5, vcc_lo
	v_add_co_u32 v2, s0, v2, s5
	s_delay_alu instid0(VALU_DEP_3)
	v_cmp_le_i32_e32 vcc_lo, s44, v10
	v_med3_i32 v6, v6, s6, 0x7f
	v_add_co_ci_u32_e64 v3, s0, 0, v3, s0
	s_addc_u32 s3, s3, 0
	s_or_b32 s4, vcc_lo, s4
	global_store_b8 v[7:8], v6, off
	s_and_not1_b32 exec_lo, exec_lo, s4
	s_cbranch_execz .LBB11_55
.LBB11_52:                              ; =>This Inner Loop Header: Depth=1
	global_load_u16 v6, v[2:3], off
	s_mov_b32 s0, exec_lo
	s_waitcnt vmcnt(0)
	v_lshlrev_b32_e32 v6, 16, v6
	s_delay_alu instid0(VALU_DEP_1) | instskip(NEXT) | instid1(VALU_DEP_1)
	v_mul_f32_e32 v6, v15, v6
	v_rndne_f32_e32 v7, v6
	v_bfrev_b32_e32 v6, -2
	s_delay_alu instid0(VALU_DEP_2)
	v_cmpx_nle_f32_e32 0x4f000000, v7
	s_cbranch_execz .LBB11_51
; %bb.53:                               ;   in Loop: Header=BB11_52 Depth=1
	v_bfrev_b32_e32 v6, 1
	s_mov_b32 s7, exec_lo
	v_cmpx_nge_f32_e32 0xcf000000, v7
	s_cbranch_execz .LBB11_50
; %bb.54:                               ;   in Loop: Header=BB11_52 Depth=1
	v_cvt_i32_f32_e32 v6, v7
	s_branch .LBB11_50
.LBB11_55:
	s_set_inst_prefetch_distance 0x2
	s_or_b32 exec_lo, exec_lo, s1
	s_ashr_i32 s45, s44, 31
	s_mov_b32 s56, exec_lo
	s_lshl_b64 s[46:47], s[44:45], 1
	s_delay_alu instid0(SALU_CYCLE_1) | instskip(SKIP_4) | instid1(SALU_CYCLE_1)
	s_add_u32 s51, s33, s46
	s_addc_u32 s52, s48, s47
	s_add_u32 s53, s42, s44
	s_addc_u32 s54, s43, s45
	s_sub_i32 s50, s49, s44
	s_ashr_i32 s0, s50, 31
	s_delay_alu instid0(SALU_CYCLE_1) | instskip(NEXT) | instid1(SALU_CYCLE_1)
	s_lshr_b32 s0, s0, 28
	s_add_i32 s0, s50, s0
	s_delay_alu instid0(SALU_CYCLE_1) | instskip(NEXT) | instid1(SALU_CYCLE_1)
	s_ashr_i32 s55, s0, 4
	v_cmpx_gt_i32_e64 s55, v0
	s_cbranch_execz .LBB11_127
; %bb.56:
	v_cvt_f32_u32_e32 v1, s31
	s_sub_i32 s0, 0, s31
	v_add_nc_u32_e32 v3, s31, v0
	s_cmp_eq_u32 s31, 1
	s_mov_b32 s58, 0
	v_rcp_iflag_f32_e32 v1, v1
	v_mov_b32_e32 v10, v0
	v_cmp_gt_i32_e32 vcc_lo, s55, v3
	v_max_i32_e32 v4, s55, v3
	s_waitcnt_depctr 0xfff
	v_mul_f32_e32 v1, 0x4f7ffffe, v1
	s_delay_alu instid0(VALU_DEP_1) | instskip(NEXT) | instid1(VALU_DEP_1)
	v_cvt_u32_f32_e32 v1, v1
	v_mul_lo_u32 v2, s0, v1
	v_add_co_ci_u32_e64 v3, s0, s31, v0, vcc_lo
	s_delay_alu instid0(VALU_DEP_1) | instskip(NEXT) | instid1(VALU_DEP_3)
	v_sub_nc_u32_e32 v3, v4, v3
	v_mul_hi_u32 v2, v1, v2
	s_delay_alu instid0(VALU_DEP_1) | instskip(NEXT) | instid1(VALU_DEP_1)
	v_add_nc_u32_e32 v1, v1, v2
	v_mul_hi_u32 v1, v3, v1
	s_delay_alu instid0(VALU_DEP_1) | instskip(NEXT) | instid1(VALU_DEP_1)
	v_mul_lo_u32 v2, v1, s31
	v_sub_nc_u32_e32 v2, v3, v2
	v_add_nc_u32_e32 v3, 1, v1
	s_delay_alu instid0(VALU_DEP_2) | instskip(SKIP_1) | instid1(VALU_DEP_1)
	v_subrev_nc_u32_e32 v4, s31, v2
	v_cmp_le_u32_e64 s0, s31, v2
	v_cndmask_b32_e64 v1, v1, v3, s0
	s_delay_alu instid0(VALU_DEP_3) | instskip(NEXT) | instid1(VALU_DEP_2)
	v_cndmask_b32_e64 v2, v2, v4, s0
	v_add_nc_u32_e32 v3, 1, v1
	s_delay_alu instid0(VALU_DEP_2) | instskip(NEXT) | instid1(VALU_DEP_1)
	v_cmp_le_u32_e64 s0, s31, v2
	v_cndmask_b32_e64 v1, v1, v3, s0
	s_cselect_b32 s0, -1, 0
	s_delay_alu instid0(VALU_DEP_1) | instskip(NEXT) | instid1(VALU_DEP_1)
	v_add_co_ci_u32_e32 v5, vcc_lo, 1, v1, vcc_lo
	v_cmp_lt_u32_e32 vcc_lo, 1, v5
	s_and_b32 s1, vcc_lo, s0
	s_mov_b32 s0, -1
	s_and_saveexec_b32 s57, s1
	s_cbranch_execz .LBB11_60
; %bb.57:
	v_dual_mov_b32 v2, 0 :: v_dual_add_nc_u32 v1, 1, v0
	v_dual_mov_b32 v7, v9 :: v_dual_and_b32 v6, -2, v5
	s_movk_i32 s59, 0xff80
	s_delay_alu instid0(VALU_DEP_2) | instskip(NEXT) | instid1(VALU_DEP_2)
	v_dual_mov_b32 v4, v1 :: v_dual_mov_b32 v3, v0
	v_mov_b32_e32 v8, v6
.LBB11_58:                              ; =>This Inner Loop Header: Depth=1
	s_delay_alu instid0(VALU_DEP_1) | instskip(NEXT) | instid1(VALU_DEP_3)
	v_dual_mov_b32 v1, v3 :: v_dual_add_nc_u32 v8, -2, v8
	v_dual_mov_b32 v10, v4 :: v_dual_mov_b32 v11, v2
	s_delay_alu instid0(VALU_DEP_2) | instskip(NEXT) | instid1(VALU_DEP_3)
	v_lshlrev_b64 v[12:13], 5, v[1:2]
	v_cmp_eq_u32_e32 vcc_lo, 0, v8
	v_lshlrev_b64 v[18:19], 4, v[1:2]
	s_delay_alu instid0(VALU_DEP_4) | instskip(SKIP_4) | instid1(VALU_DEP_4)
	v_lshlrev_b64 v[16:17], 5, v[10:11]
	v_lshlrev_b64 v[10:11], 4, v[10:11]
	s_or_b32 s58, vcc_lo, s58
	v_add_co_u32 v24, vcc_lo, s51, v12
	v_add_co_ci_u32_e32 v25, vcc_lo, s52, v13, vcc_lo
	v_add_co_u32 v20, vcc_lo, s51, v16
	v_add_co_ci_u32_e32 v21, vcc_lo, s52, v17, vcc_lo
	;; [unrolled: 2-line block ×4, first 2 shown]
	s_clause 0x3
	global_load_b128 v[10:13], v[24:25], off
	global_load_b128 v[16:19], v[20:21], off
	global_load_b128 v[20:23], v[20:21], off offset:16
	global_load_b128 v[24:27], v[24:25], off offset:16
	s_waitcnt vmcnt(2)
	v_lshlrev_b32_e32 v35, 16, v18
	v_lshlrev_b32_e32 v33, 16, v17
	s_waitcnt vmcnt(0)
	v_lshlrev_b32_e32 v44, 16, v27
	v_and_b32_e32 v27, 0xffff0000, v27
	v_lshlrev_b32_e32 v43, 16, v22
	v_and_b32_e32 v22, 0xffff0000, v22
	v_lshlrev_b32_e32 v14, 16, v16
	v_mul_f32_e32 v44, v15, v44
	v_mul_f32_e32 v27, v15, v27
	s_delay_alu instid0(VALU_DEP_4) | instskip(SKIP_2) | instid1(VALU_DEP_3)
	v_dual_mul_f32 v22, v15, v22 :: v_dual_lshlrev_b32 v45, 16, v23
	v_lshlrev_b32_e32 v42, 16, v26
	v_dual_mul_f32 v43, v15, v43 :: v_dual_lshlrev_b32 v40, 16, v25
	v_mul_f32_e32 v45, v15, v45
	s_delay_alu instid0(VALU_DEP_3) | instskip(SKIP_2) | instid1(VALU_DEP_3)
	v_dual_mul_f32 v42, v15, v42 :: v_dual_lshlrev_b32 v39, 16, v20
	v_lshlrev_b32_e32 v36, 16, v13
	v_and_b32_e32 v25, 0xffff0000, v25
	v_dual_mul_f32 v39, v15, v39 :: v_dual_and_b32 v20, 0xffff0000, v20
	s_delay_alu instid0(VALU_DEP_3) | instskip(NEXT) | instid1(VALU_DEP_3)
	v_dual_mul_f32 v36, v15, v36 :: v_dual_and_b32 v13, 0xffff0000, v13
	v_dual_mul_f32 v25, v15, v25 :: v_dual_and_b32 v18, 0xffff0000, v18
	s_delay_alu instid0(VALU_DEP_3) | instskip(NEXT) | instid1(VALU_DEP_3)
	v_dual_mul_f32 v20, v15, v20 :: v_dual_lshlrev_b32 v41, 16, v21
	v_mul_f32_e32 v13, v15, v13
	s_delay_alu instid0(VALU_DEP_3) | instskip(SKIP_1) | instid1(VALU_DEP_4)
	v_dual_mul_f32 v18, v15, v18 :: v_dual_lshlrev_b32 v37, 16, v19
	v_lshlrev_b32_e32 v32, 16, v11
	v_dual_mul_f32 v41, v15, v41 :: v_dual_lshlrev_b32 v38, 16, v24
	s_delay_alu instid0(VALU_DEP_3) | instskip(NEXT) | instid1(VALU_DEP_3)
	v_mul_f32_e32 v37, v15, v37
	v_dual_mul_f32 v32, v15, v32 :: v_dual_and_b32 v11, 0xffff0000, v11
	v_and_b32_e32 v16, 0xffff0000, v16
	v_lshlrev_b32_e32 v34, 16, v12
	v_dual_mul_f32 v38, v15, v38 :: v_dual_and_b32 v19, 0xffff0000, v19
	s_delay_alu instid0(VALU_DEP_4) | instskip(NEXT) | instid1(VALU_DEP_4)
	v_dual_mul_f32 v11, v15, v11 :: v_dual_and_b32 v12, 0xffff0000, v12
	v_dual_mul_f32 v16, v15, v16 :: v_dual_lshlrev_b32 v1, 16, v10
	s_delay_alu instid0(VALU_DEP_3) | instskip(NEXT) | instid1(VALU_DEP_3)
	v_dual_mul_f32 v19, v15, v19 :: v_dual_add_nc_u32 v4, 2, v4
	v_mul_f32_e32 v12, v15, v12
	s_delay_alu instid0(VALU_DEP_3) | instskip(SKIP_3) | instid1(VALU_DEP_4)
	v_mul_f32_e32 v1, v15, v1
	v_mul_f32_e32 v35, v15, v35
	v_dual_mul_f32 v34, v15, v34 :: v_dual_and_b32 v17, 0xffff0000, v17
	v_and_b32_e32 v10, 0xffff0000, v10
	v_rndne_f32_e32 v1, v1
	v_rndne_f32_e32 v16, v16
	s_delay_alu instid0(VALU_DEP_4)
	v_mul_f32_e32 v17, v15, v17
	v_rndne_f32_e32 v32, v32
	v_mul_f32_e32 v10, v15, v10
	v_mul_f32_e32 v33, v15, v33
	v_dual_mul_f32 v14, v15, v14 :: v_dual_add_nc_u32 v3, 2, v3
	v_cmp_nge_f32_e32 vcc_lo, 0xcf000000, v1
	s_delay_alu instid0(VALU_DEP_4) | instskip(NEXT) | instid1(VALU_DEP_4)
	v_rndne_f32_e32 v10, v10
	v_rndne_f32_e32 v33, v33
	;; [unrolled: 1-line block ×4, first 2 shown]
	v_cndmask_b32_e32 v46, 0xcf000000, v1, vcc_lo
	v_rndne_f32_e32 v17, v17
	v_rndne_f32_e32 v34, v34
	;; [unrolled: 1-line block ×3, first 2 shown]
	v_cmp_nge_f32_e32 vcc_lo, 0xcf000000, v14
	v_rndne_f32_e32 v12, v12
	v_rndne_f32_e32 v18, v18
	;; [unrolled: 1-line block ×4, first 2 shown]
	v_cndmask_b32_e32 v47, 0xcf000000, v14, vcc_lo
	v_cmp_nge_f32_e32 vcc_lo, 0xcf000000, v10
	v_rndne_f32_e32 v13, v13
	v_rndne_f32_e32 v19, v19
	v_dual_mul_f32 v40, v15, v40 :: v_dual_and_b32 v21, 0xffff0000, v21
	v_cndmask_b32_e32 v48, 0xcf000000, v10, vcc_lo
	v_cmp_nge_f32_e32 vcc_lo, 0xcf000000, v16
	s_delay_alu instid0(VALU_DEP_3)
	v_dual_mul_f32 v21, v15, v21 :: v_dual_and_b32 v24, 0xffff0000, v24
	v_rndne_f32_e32 v38, v38
	v_rndne_f32_e32 v39, v39
	v_cndmask_b32_e32 v49, 0xcf000000, v16, vcc_lo
	v_cmp_nge_f32_e32 vcc_lo, 0xcf000000, v32
	v_mul_f32_e32 v24, v15, v24
	v_rndne_f32_e32 v20, v20
	v_rndne_f32_e32 v40, v40
	v_rndne_f32_e32 v41, v41
	v_cndmask_b32_e32 v50, 0xcf000000, v32, vcc_lo
	v_cmp_nge_f32_e32 vcc_lo, 0xcf000000, v33
	v_rndne_f32_e32 v24, v24
	v_rndne_f32_e32 v25, v25
	;; [unrolled: 1-line block ×3, first 2 shown]
	v_and_b32_e32 v23, 0xffff0000, v23
	v_cndmask_b32_e32 v51, 0xcf000000, v33, vcc_lo
	v_cmp_nge_f32_e32 vcc_lo, 0xcf000000, v11
	v_and_b32_e32 v26, 0xffff0000, v26
	v_rndne_f32_e32 v42, v42
	v_mul_f32_e32 v23, v15, v23
	v_rndne_f32_e32 v43, v43
	v_cndmask_b32_e32 v52, 0xcf000000, v11, vcc_lo
	v_cmp_nge_f32_e32 vcc_lo, 0xcf000000, v17
	v_mul_f32_e32 v26, v15, v26
	v_rndne_f32_e32 v22, v22
	v_rndne_f32_e32 v44, v44
	;; [unrolled: 1-line block ×3, first 2 shown]
	v_cndmask_b32_e32 v53, 0xcf000000, v17, vcc_lo
	v_cmp_nge_f32_e32 vcc_lo, 0xcf000000, v34
	v_rndne_f32_e32 v26, v26
	v_rndne_f32_e32 v27, v27
	v_rndne_f32_e32 v23, v23
	v_cmp_nle_f32_e64 s30, 0x4f000000, v1
	v_cndmask_b32_e32 v54, 0xcf000000, v34, vcc_lo
	v_cmp_nge_f32_e32 vcc_lo, 0xcf000000, v35
	v_cmp_nle_f32_e64 s0, 0x4f000000, v16
	v_cmp_nle_f32_e64 s1, 0x4f000000, v10
	v_cmp_nle_f32_e64 s5, 0x4f000000, v11
	v_cmp_nle_f32_e64 s6, 0x4f000000, v35
	v_cndmask_b32_e32 v55, 0xcf000000, v35, vcc_lo
	v_cmp_nge_f32_e32 vcc_lo, 0xcf000000, v12
	v_cmp_nle_f32_e64 s7, 0x4f000000, v34
	v_cmp_nle_f32_e64 s8, 0x4f000000, v18
	v_cmp_nle_f32_e64 s9, 0x4f000000, v12
	;; [unrolled: 6-line block ×4, first 2 shown]
	v_cmp_nle_f32_e64 s19, 0x4f000000, v40
	v_cndmask_b32_e32 v58, 0xcf000000, v36, vcc_lo
	v_cmp_nge_f32_e32 vcc_lo, 0xcf000000, v37
	v_cmp_nle_f32_e64 s20, 0x4f000000, v21
	v_cmp_nle_f32_e64 s2, 0x4f000000, v33
	v_cvt_i32_f32_e32 v33, v50
	v_cmp_nle_f32_e64 s3, 0x4f000000, v32
	v_cndmask_b32_e32 v59, 0xcf000000, v37, vcc_lo
	v_cmp_nge_f32_e32 vcc_lo, 0xcf000000, v13
	v_cmp_nle_f32_e64 s4, 0x4f000000, v17
	v_cvt_i32_f32_e32 v17, v52
	v_cmp_nle_f32_e64 s10, 0x4f000000, v37
	v_cvt_i32_f32_e32 v37, v58
	v_cndmask_b32_e32 v60, 0xcf000000, v13, vcc_lo
	v_cmp_nge_f32_e32 vcc_lo, 0xcf000000, v19
	v_cndmask_b32_e64 v33, 0x7fffffff, v33, s3
	v_cndmask_b32_e64 v17, 0x7fffffff, v17, s5
	;; [unrolled: 1-line block ×3, first 2 shown]
	v_cmp_nle_f32_e64 s24, 0x4f000000, v22
	v_cndmask_b32_e32 v61, 0xcf000000, v19, vcc_lo
	v_cmp_nge_f32_e32 vcc_lo, 0xcf000000, v38
	v_cmp_nle_f32_e64 s25, 0x4f000000, v26
	v_add_nc_u32_e32 v33, v33, v9
	v_add_nc_u32_e32 v17, v17, v9
	v_cvt_i32_f32_e32 v47, v47
	v_cndmask_b32_e32 v62, 0xcf000000, v38, vcc_lo
	v_cmp_nge_f32_e32 vcc_lo, 0xcf000000, v39
	v_cmp_nle_f32_e64 s23, 0x4f000000, v42
	v_add_nc_u32_e32 v37, v37, v9
	v_med3_i32 v33, v33, s59, 0x7f
	v_med3_i32 v17, v17, s59, 0x7f
	v_cndmask_b32_e32 v63, 0xcf000000, v39, vcc_lo
	v_cmp_nge_f32_e32 vcc_lo, 0xcf000000, v24
	v_med3_i32 v37, v37, s59, 0x7f
	v_cmp_nle_f32_e64 s21, 0x4f000000, v25
	v_cmp_nle_f32_e64 s22, 0x4f000000, v43
	v_cvt_i32_f32_e32 v10, v51
	v_cndmask_b32_e32 v64, 0xcf000000, v24, vcc_lo
	v_cmp_nge_f32_e32 vcc_lo, 0xcf000000, v20
	v_cvt_i32_f32_e32 v32, v53
	v_cvt_i32_f32_e32 v34, v57
	;; [unrolled: 1-line block ×3, first 2 shown]
	v_cmp_nle_f32_e64 s26, 0x4f000000, v45
	v_cndmask_b32_e32 v65, 0xcf000000, v20, vcc_lo
	v_cmp_nge_f32_e32 vcc_lo, 0xcf000000, v40
	v_cvt_i32_f32_e32 v20, v64
	v_cmp_nle_f32_e64 s27, 0x4f000000, v44
	v_cmp_nle_f32_e64 s28, 0x4f000000, v23
	;; [unrolled: 1-line block ×3, first 2 shown]
	v_cndmask_b32_e32 v66, 0xcf000000, v40, vcc_lo
	v_cmp_nge_f32_e32 vcc_lo, 0xcf000000, v41
	v_cndmask_b32_e64 v20, 0x7fffffff, v20, s17
	v_cndmask_b32_e64 v10, 0x7fffffff, v10, s2
	v_cndmask_b32_e64 v32, 0x7fffffff, v32, s4
	v_cndmask_b32_e64 v34, 0x7fffffff, v34, s8
	v_cndmask_b32_e32 v67, 0xcf000000, v41, vcc_lo
	v_cmp_nge_f32_e32 vcc_lo, 0xcf000000, v25
	v_add_nc_u32_e32 v20, v20, v9
	v_cvt_i32_f32_e32 v13, v63
	v_cvt_i32_f32_e32 v41, v66
	v_cndmask_b32_e64 v12, 0x7fffffff, v12, s10
	v_cndmask_b32_e32 v68, 0xcf000000, v25, vcc_lo
	v_cmp_nge_f32_e32 vcc_lo, 0xcf000000, v21
	v_cndmask_b32_e64 v13, 0x7fffffff, v13, s14
	v_cndmask_b32_e64 v41, 0x7fffffff, v41, s19
	v_med3_i32 v20, v20, s59, 0x7f
	v_dual_cndmask_b32 v69, 0xcf000000, v21 :: v_dual_add_nc_u32 v10, v10, v7
	v_cmp_nge_f32_e32 vcc_lo, 0xcf000000, v42
	v_add_nc_u32_e32 v13, v13, v7
	v_cvt_i32_f32_e32 v19, v60
	v_add_nc_u32_e32 v41, v41, v9
	v_add_nc_u32_e32 v32, v32, v7
	v_cndmask_b32_e32 v70, 0xcf000000, v42, vcc_lo
	v_cmp_nge_f32_e32 vcc_lo, 0xcf000000, v43
	v_cndmask_b32_e64 v19, 0x7fffffff, v19, s13
	v_med3_i32 v41, v41, s59, 0x7f
	v_add_nc_u32_e32 v34, v34, v7
	v_add_nc_u32_e32 v12, v12, v7
	v_cndmask_b32_e32 v71, 0xcf000000, v43, vcc_lo
	v_cmp_nge_f32_e32 vcc_lo, 0xcf000000, v26
	v_add_nc_u32_e32 v19, v19, v9
	v_cvt_i32_f32_e32 v39, v62
	v_med3_i32 v10, v10, s59, 0x7f
	v_med3_i32 v32, v32, s59, 0x7f
	v_cndmask_b32_e32 v72, 0xcf000000, v26, vcc_lo
	v_cmp_nge_f32_e32 vcc_lo, 0xcf000000, v22
	v_cndmask_b32_e64 v39, 0x7fffffff, v39, s15
	v_med3_i32 v19, v19, s59, 0x7f
	v_med3_i32 v34, v34, s59, 0x7f
	;; [unrolled: 1-line block ×3, first 2 shown]
	v_cndmask_b32_e32 v73, 0xcf000000, v22, vcc_lo
	v_cmp_nge_f32_e32 vcc_lo, 0xcf000000, v44
	v_cvt_i32_f32_e32 v22, v72
	v_add_nc_u32_e32 v39, v39, v9
	v_med3_i32 v13, v13, s59, 0x7f
	v_and_b32_e32 v10, 0xff, v10
	v_cndmask_b32_e32 v74, 0xcf000000, v44, vcc_lo
	v_cmp_nge_f32_e32 vcc_lo, 0xcf000000, v45
	v_cndmask_b32_e64 v22, 0x7fffffff, v22, s25
	v_med3_i32 v39, v39, s59, 0x7f
	v_lshlrev_b16 v32, 8, v32
	v_lshlrev_b16 v34, 8, v34
	v_cndmask_b32_e32 v75, 0xcf000000, v45, vcc_lo
	v_cmp_nge_f32_e32 vcc_lo, 0xcf000000, v27
	v_add_nc_u32_e32 v22, v22, v9
	v_cvt_i32_f32_e32 v25, v71
	v_cvt_i32_f32_e32 v45, v74
	v_and_b32_e32 v12, 0xff, v12
	v_cndmask_b32_e32 v76, 0xcf000000, v27, vcc_lo
	v_cmp_nge_f32_e32 vcc_lo, 0xcf000000, v23
	v_cndmask_b32_e64 v25, 0x7fffffff, v25, s22
	v_and_b32_e32 v13, 0xff, v13
	v_cndmask_b32_e64 v45, 0x7fffffff, v45, s27
	v_or_b32_e32 v10, v10, v32
	v_cndmask_b32_e32 v77, 0xcf000000, v23, vcc_lo
	v_cmp_nle_f32_e32 vcc_lo, 0x4f000000, v14
	v_cvt_i32_f32_e32 v14, v46
	v_add_nc_u32_e32 v25, v25, v7
	v_cvt_i32_f32_e32 v21, v68
	v_cvt_i32_f32_e32 v44, v77
	v_cvt_i32_f32_e32 v23, v76
	v_cndmask_b32_e64 v1, 0x7fffffff, v14, s30
	v_med3_i32 v25, v25, s59, 0x7f
	v_cndmask_b32_e64 v21, 0x7fffffff, v21, s21
	v_cndmask_b32_e64 v44, 0x7fffffff, v44, s28
	;; [unrolled: 1-line block ×3, first 2 shown]
	v_add_nc_u32_e32 v1, v1, v9
	v_cvt_i32_f32_e32 v16, v48
	v_add_nc_u32_e32 v21, v21, v9
	v_add_nc_u32_e32 v44, v44, v7
	v_cvt_i32_f32_e32 v43, v70
	v_med3_i32 v1, v1, s59, 0x7f
	v_cndmask_b32_e64 v16, 0x7fffffff, v16, s1
	v_and_b32_e32 v25, 0xff, v25
	v_med3_i32 v44, v44, s59, 0x7f
	v_cndmask_b32_e64 v43, 0x7fffffff, v43, s23
	v_add_nc_u32_e32 v45, v45, v9
	v_add_nc_u32_e32 v16, v16, v9
	v_cvt_i32_f32_e32 v11, v55
	v_lshlrev_b16 v44, 8, v44
	v_add_nc_u32_e32 v43, v43, v9
	v_add_nc_u32_e32 v23, v23, v9
	v_med3_i32 v16, v16, s59, 0x7f
	v_cndmask_b32_e64 v11, 0x7fffffff, v11, s6
	v_lshlrev_b32_e32 v10, 16, v10
	v_med3_i32 v21, v21, s59, 0x7f
	v_med3_i32 v43, v43, s59, 0x7f
	;; [unrolled: 1-line block ×3, first 2 shown]
	v_add_nc_u32_e32 v11, v11, v7
	v_cvt_i32_f32_e32 v35, v54
	v_med3_i32 v45, v45, s59, 0x7f
	v_med3_i32 v23, v23, s59, 0x7f
	s_delay_alu instid0(VALU_DEP_4) | instskip(NEXT) | instid1(VALU_DEP_4)
	v_med3_i32 v11, v11, s59, 0x7f
	v_cndmask_b32_e64 v35, 0x7fffffff, v35, s7
	s_delay_alu instid0(VALU_DEP_2) | instskip(NEXT) | instid1(VALU_DEP_2)
	v_and_b32_e32 v11, 0xff, v11
	v_add_nc_u32_e32 v35, v35, v9
	v_cvt_i32_f32_e32 v18, v56
	s_delay_alu instid0(VALU_DEP_3) | instskip(NEXT) | instid1(VALU_DEP_3)
	v_or_b32_e32 v11, v11, v34
	v_med3_i32 v35, v35, s59, 0x7f
	s_delay_alu instid0(VALU_DEP_3) | instskip(NEXT) | instid1(VALU_DEP_3)
	v_cndmask_b32_e64 v18, 0x7fffffff, v18, s9
	v_and_b32_e32 v11, 0xffff, v11
	s_delay_alu instid0(VALU_DEP_2) | instskip(SKIP_1) | instid1(VALU_DEP_2)
	v_add_nc_u32_e32 v18, v18, v9
	v_cvt_i32_f32_e32 v36, v61
	v_med3_i32 v18, v18, s59, 0x7f
	s_delay_alu instid0(VALU_DEP_2)
	v_cndmask_b32_e64 v36, 0x7fffffff, v36, s12
	s_clause 0xb
	global_store_b8 v[28:29], v1, off
	global_store_b8 v[28:29], v16, off offset:1
	global_store_b8 v[28:29], v33, off offset:2
	;; [unrolled: 1-line block ×11, first 2 shown]
	v_add_nc_u32_e32 v36, v36, v7
	v_cvt_i32_f32_e32 v38, v65
	s_delay_alu instid0(VALU_DEP_2) | instskip(NEXT) | instid1(VALU_DEP_2)
	v_med3_i32 v36, v36, s59, 0x7f
	v_cndmask_b32_e64 v38, 0x7fffffff, v38, s16
	s_delay_alu instid0(VALU_DEP_2) | instskip(NEXT) | instid1(VALU_DEP_2)
	v_lshlrev_b16 v36, 8, v36
	v_add_nc_u32_e32 v38, v38, v7
	v_cvt_i32_f32_e32 v24, v67
	s_delay_alu instid0(VALU_DEP_3) | instskip(NEXT) | instid1(VALU_DEP_3)
	v_or_b32_e32 v12, v12, v36
	v_med3_i32 v38, v38, s59, 0x7f
	s_delay_alu instid0(VALU_DEP_3) | instskip(NEXT) | instid1(VALU_DEP_3)
	v_cndmask_b32_e64 v24, 0x7fffffff, v24, s18
	v_lshlrev_b32_e32 v19, 16, v12
	s_delay_alu instid0(VALU_DEP_3) | instskip(NEXT) | instid1(VALU_DEP_3)
	v_lshlrev_b16 v38, 8, v38
	v_add_nc_u32_e32 v24, v24, v7
	v_cvt_i32_f32_e32 v40, v69
	s_delay_alu instid0(VALU_DEP_4) | instskip(NEXT) | instid1(VALU_DEP_4)
	v_or_b32_e32 v11, v11, v19
	v_or_b32_e32 v13, v13, v38
	s_delay_alu instid0(VALU_DEP_4) | instskip(NEXT) | instid1(VALU_DEP_4)
	v_med3_i32 v24, v24, s59, 0x7f
	v_cndmask_b32_e64 v40, 0x7fffffff, v40, s20
	s_delay_alu instid0(VALU_DEP_3) | instskip(NEXT) | instid1(VALU_DEP_3)
	v_and_b32_e32 v18, 0xffff, v13
	v_and_b32_e32 v24, 0xff, v24
	s_delay_alu instid0(VALU_DEP_3) | instskip(SKIP_1) | instid1(VALU_DEP_2)
	v_add_nc_u32_e32 v40, v40, v7
	v_cvt_i32_f32_e32 v42, v73
	v_med3_i32 v40, v40, s59, 0x7f
	s_delay_alu instid0(VALU_DEP_2) | instskip(NEXT) | instid1(VALU_DEP_2)
	v_cndmask_b32_e64 v42, 0x7fffffff, v42, s24
	v_lshlrev_b16 v40, 8, v40
	s_delay_alu instid0(VALU_DEP_2) | instskip(SKIP_1) | instid1(VALU_DEP_3)
	v_add_nc_u32_e32 v42, v42, v7
	v_cvt_i32_f32_e32 v26, v75
	v_or_b32_e32 v17, v24, v40
	v_cndmask_b32_e32 v14, 0x7fffffff, v47, vcc_lo
	s_delay_alu instid0(VALU_DEP_3) | instskip(SKIP_1) | instid1(VALU_DEP_4)
	v_cndmask_b32_e64 v26, 0x7fffffff, v26, s26
	v_med3_i32 v42, v42, s59, 0x7f
	v_lshlrev_b32_e32 v17, 16, v17
	s_delay_alu instid0(VALU_DEP_4)
	v_add_nc_u32_e32 v14, v14, v7
	v_cvt_i32_f32_e32 v46, v49
	v_add_nc_u32_e32 v26, v26, v7
	v_lshlrev_b16 v42, 8, v42
	v_or_b32_e32 v12, v18, v17
	v_med3_i32 v14, v14, s59, 0x7f
	v_cndmask_b32_e64 v27, 0x7fffffff, v46, s0
	v_med3_i32 v26, v26, s59, 0x7f
	s_delay_alu instid0(VALU_DEP_3) | instskip(NEXT) | instid1(VALU_DEP_3)
	v_and_b32_e32 v14, 0xff, v14
	v_add_nc_u32_e32 v27, v27, v7
	s_delay_alu instid0(VALU_DEP_3) | instskip(NEXT) | instid1(VALU_DEP_2)
	v_and_b32_e32 v26, 0xff, v26
	v_med3_i32 v27, v27, s59, 0x7f
	s_delay_alu instid0(VALU_DEP_2) | instskip(NEXT) | instid1(VALU_DEP_2)
	v_or_b32_e32 v16, v26, v44
	v_lshlrev_b16 v27, 8, v27
	s_delay_alu instid0(VALU_DEP_2) | instskip(NEXT) | instid1(VALU_DEP_2)
	v_lshlrev_b32_e32 v16, 16, v16
	v_or_b32_e32 v1, v14, v27
	v_or_b32_e32 v14, v25, v42
	s_delay_alu instid0(VALU_DEP_2) | instskip(NEXT) | instid1(VALU_DEP_2)
	v_and_b32_e32 v1, 0xffff, v1
	v_and_b32_e32 v14, 0xffff, v14
	s_delay_alu instid0(VALU_DEP_2) | instskip(NEXT) | instid1(VALU_DEP_2)
	v_or_b32_e32 v10, v1, v10
	v_or_b32_e32 v13, v14, v16
	s_clause 0x4
	global_store_b8 v[28:29], v43, off offset:12
	global_store_b8 v[28:29], v22, off offset:13
	;; [unrolled: 1-line block ×4, first 2 shown]
	global_store_b128 v[30:31], v[10:13], off
	s_and_not1_b32 exec_lo, exec_lo, s58
	s_cbranch_execnz .LBB11_58
; %bb.59:
	s_or_b32 exec_lo, exec_lo, s58
	v_cmp_ne_u32_e32 vcc_lo, v5, v6
	v_add_nc_u32_e32 v10, v0, v6
	s_or_not1_b32 s0, vcc_lo, exec_lo
.LBB11_60:
	s_or_b32 exec_lo, exec_lo, s57
	s_delay_alu instid0(SALU_CYCLE_1)
	s_and_b32 exec_lo, exec_lo, s0
	s_cbranch_execz .LBB11_127
; %bb.61:
	v_mov_b32_e32 v11, 0
	s_add_u32 s0, s44, s36
	s_addc_u32 s1, s45, s37
	s_add_u32 s0, s40, s0
	s_addc_u32 s2, s41, s1
	v_lshlrev_b64 v[1:2], 4, v[10:11]
	v_lshlrev_b64 v[3:4], 5, v[10:11]
	s_lshl_b32 s1, s31, 4
	s_movk_i32 s4, 0xff80
	s_delay_alu instid0(VALU_DEP_2)
	v_add_co_u32 v11, vcc_lo, s0, v1
	s_add_u32 s0, s34, s46
	v_add_co_ci_u32_e32 v12, vcc_lo, s2, v2, vcc_lo
	s_addc_u32 s2, s35, s47
	s_add_u32 s0, s0, s38
	s_addc_u32 s2, s2, s39
	v_add_co_u32 v13, vcc_lo, s0, v3
	v_add_co_ci_u32_e32 v14, vcc_lo, s2, v4, vcc_lo
	s_mov_b32 s2, 0
	s_lshl_b32 s3, s31, 5
	s_branch .LBB11_64
.LBB11_62:                              ;   in Loop: Header=BB11_64 Depth=1
	s_or_b32 exec_lo, exec_lo, s5
.LBB11_63:                              ;   in Loop: Header=BB11_64 Depth=1
	s_delay_alu instid0(SALU_CYCLE_1)
	s_or_b32 exec_lo, exec_lo, s0
	v_add_nc_u32_e32 v4, v24, v9
	v_add_nc_u32_e32 v21, v21, v9
	;; [unrolled: 1-line block ×5, first 2 shown]
	v_med3_i32 v4, v4, s4, 0x7f
	v_med3_i32 v21, v21, s4, 0x7f
	;; [unrolled: 1-line block ×4, first 2 shown]
	v_add_nc_u32_e32 v2, v2, v9
	v_add_nc_u32_e32 v22, v22, v9
	;; [unrolled: 1-line block ×9, first 2 shown]
	v_lshlrev_b16 v3, 8, v3
	v_and_b32_e32 v4, 0xff, v4
	v_lshlrev_b16 v21, 8, v21
	v_and_b32_e32 v8, 0xff, v8
	v_add_nc_u32_e32 v16, v16, v9
	v_add_nc_u32_e32 v17, v17, v9
	v_med3_i32 v23, v23, s4, 0x7f
	v_med3_i32 v2, v2, s4, 0x7f
	;; [unrolled: 1-line block ×10, first 2 shown]
	v_or_b32_e32 v3, v4, v3
	v_or_b32_e32 v4, v8, v21
	v_med3_i32 v8, v16, s4, 0x7f
	v_med3_i32 v16, v17, s4, 0x7f
	v_lshlrev_b16 v23, 8, v23
	v_and_b32_e32 v2, 0xff, v2
	v_and_b32_e32 v17, 0xffff, v4
	v_lshlrev_b16 v4, 8, v22
	v_and_b32_e32 v1, 0xff, v1
	v_lshlrev_b16 v19, 8, v19
	;; [unrolled: 2-line block ×5, first 2 shown]
	v_and_b32_e32 v18, 0xff, v18
	v_or_b32_e32 v2, v2, v23
	v_or_b32_e32 v1, v1, v4
	;; [unrolled: 1-line block ×6, first 2 shown]
	v_and_b32_e32 v2, 0xffff, v2
	v_lshlrev_b32_e32 v3, 16, v3
	v_lshlrev_b32_e32 v1, 16, v1
	v_and_b32_e32 v8, 0xffff, v4
	v_lshlrev_b32_e32 v6, 16, v6
	v_and_b32_e32 v7, 0xffff, v7
	v_lshlrev_b32_e32 v5, 16, v5
	v_or_b32_e32 v4, v2, v3
	v_or_b32_e32 v3, v17, v1
	;; [unrolled: 1-line block ×3, first 2 shown]
	v_add_nc_u32_e32 v10, s31, v10
	v_or_b32_e32 v1, v7, v5
	v_add_co_u32 v13, s0, v13, s3
	s_delay_alu instid0(VALU_DEP_1)
	v_add_co_ci_u32_e64 v14, s0, 0, v14, s0
	global_store_b128 v[11:12], v[1:4], off
	v_add_co_u32 v11, vcc_lo, v11, s1
	v_add_co_ci_u32_e32 v12, vcc_lo, 0, v12, vcc_lo
	v_cmp_le_i32_e32 vcc_lo, s55, v10
	s_or_b32 s2, vcc_lo, s2
	s_delay_alu instid0(SALU_CYCLE_1)
	s_and_not1_b32 exec_lo, exec_lo, s2
	s_cbranch_execz .LBB11_127
.LBB11_64:                              ; =>This Inner Loop Header: Depth=1
	s_clause 0x1
	global_load_b128 v[5:8], v[13:14], off
	global_load_b128 v[1:4], v[13:14], off offset:16
	v_bfrev_b32_e32 v17, -2
	s_mov_b32 s0, exec_lo
	s_waitcnt vmcnt(1)
	v_lshlrev_b32_e32 v16, 16, v5
	s_delay_alu instid0(VALU_DEP_1) | instskip(NEXT) | instid1(VALU_DEP_1)
	v_mul_f32_e32 v16, v15, v16
	v_rndne_f32_e32 v18, v16
	v_bfrev_b32_e32 v16, -2
	s_delay_alu instid0(VALU_DEP_2)
	v_cmpx_nle_f32_e32 0x4f000000, v18
	s_cbranch_execz .LBB11_68
; %bb.65:                               ;   in Loop: Header=BB11_64 Depth=1
	v_bfrev_b32_e32 v17, 1
	s_mov_b32 s5, exec_lo
	v_cmpx_nge_f32_e32 0xcf000000, v18
; %bb.66:                               ;   in Loop: Header=BB11_64 Depth=1
	v_cvt_i32_f32_e32 v17, v18
; %bb.67:                               ;   in Loop: Header=BB11_64 Depth=1
	s_or_b32 exec_lo, exec_lo, s5
.LBB11_68:                              ;   in Loop: Header=BB11_64 Depth=1
	s_delay_alu instid0(SALU_CYCLE_1) | instskip(SKIP_2) | instid1(VALU_DEP_1)
	s_or_b32 exec_lo, exec_lo, s0
	v_and_b32_e32 v5, 0xffff0000, v5
	s_mov_b32 s0, exec_lo
	v_mul_f32_e32 v5, v15, v5
	s_delay_alu instid0(VALU_DEP_1) | instskip(NEXT) | instid1(VALU_DEP_1)
	v_rndne_f32_e32 v5, v5
	v_cmpx_nle_f32_e32 0x4f000000, v5
	s_cbranch_execz .LBB11_72
; %bb.69:                               ;   in Loop: Header=BB11_64 Depth=1
	v_bfrev_b32_e32 v16, 1
	s_mov_b32 s5, exec_lo
	v_cmpx_nge_f32_e32 0xcf000000, v5
; %bb.70:                               ;   in Loop: Header=BB11_64 Depth=1
	v_cvt_i32_f32_e32 v16, v5
; %bb.71:                               ;   in Loop: Header=BB11_64 Depth=1
	s_or_b32 exec_lo, exec_lo, s5
.LBB11_72:                              ;   in Loop: Header=BB11_64 Depth=1
	s_delay_alu instid0(SALU_CYCLE_1) | instskip(SKIP_3) | instid1(VALU_DEP_2)
	s_or_b32 exec_lo, exec_lo, s0
	v_lshlrev_b32_e32 v5, 16, v6
	v_bfrev_b32_e32 v18, -2
	s_mov_b32 s0, exec_lo
	v_mul_f32_e32 v5, v15, v5
	s_delay_alu instid0(VALU_DEP_1) | instskip(SKIP_1) | instid1(VALU_DEP_2)
	v_rndne_f32_e32 v19, v5
	v_bfrev_b32_e32 v5, -2
	v_cmpx_nle_f32_e32 0x4f000000, v19
	s_cbranch_execz .LBB11_76
; %bb.73:                               ;   in Loop: Header=BB11_64 Depth=1
	v_bfrev_b32_e32 v18, 1
	s_mov_b32 s5, exec_lo
	v_cmpx_nge_f32_e32 0xcf000000, v19
; %bb.74:                               ;   in Loop: Header=BB11_64 Depth=1
	v_cvt_i32_f32_e32 v18, v19
; %bb.75:                               ;   in Loop: Header=BB11_64 Depth=1
	s_or_b32 exec_lo, exec_lo, s5
.LBB11_76:                              ;   in Loop: Header=BB11_64 Depth=1
	s_delay_alu instid0(SALU_CYCLE_1) | instskip(SKIP_2) | instid1(VALU_DEP_1)
	s_or_b32 exec_lo, exec_lo, s0
	v_and_b32_e32 v6, 0xffff0000, v6
	s_mov_b32 s0, exec_lo
	v_mul_f32_e32 v6, v15, v6
	s_delay_alu instid0(VALU_DEP_1) | instskip(NEXT) | instid1(VALU_DEP_1)
	v_rndne_f32_e32 v6, v6
	v_cmpx_nle_f32_e32 0x4f000000, v6
	s_cbranch_execz .LBB11_80
; %bb.77:                               ;   in Loop: Header=BB11_64 Depth=1
	v_bfrev_b32_e32 v5, 1
	s_mov_b32 s5, exec_lo
	v_cmpx_nge_f32_e32 0xcf000000, v6
; %bb.78:                               ;   in Loop: Header=BB11_64 Depth=1
	v_cvt_i32_f32_e32 v5, v6
; %bb.79:                               ;   in Loop: Header=BB11_64 Depth=1
	s_or_b32 exec_lo, exec_lo, s5
.LBB11_80:                              ;   in Loop: Header=BB11_64 Depth=1
	s_delay_alu instid0(SALU_CYCLE_1) | instskip(SKIP_3) | instid1(VALU_DEP_2)
	s_or_b32 exec_lo, exec_lo, s0
	v_lshlrev_b32_e32 v6, 16, v7
	v_bfrev_b32_e32 v19, -2
	s_mov_b32 s0, exec_lo
	v_mul_f32_e32 v6, v15, v6
	s_delay_alu instid0(VALU_DEP_1) | instskip(SKIP_1) | instid1(VALU_DEP_2)
	v_rndne_f32_e32 v20, v6
	v_bfrev_b32_e32 v6, -2
	;; [unrolled: 38-line block ×3, first 2 shown]
	v_cmpx_nle_f32_e32 0x4f000000, v21
	s_cbranch_execz .LBB11_92
; %bb.89:                               ;   in Loop: Header=BB11_64 Depth=1
	v_bfrev_b32_e32 v7, 1
	s_mov_b32 s5, exec_lo
	v_cmpx_nge_f32_e32 0xcf000000, v21
; %bb.90:                               ;   in Loop: Header=BB11_64 Depth=1
	v_cvt_i32_f32_e32 v7, v21
; %bb.91:                               ;   in Loop: Header=BB11_64 Depth=1
	s_or_b32 exec_lo, exec_lo, s5
.LBB11_92:                              ;   in Loop: Header=BB11_64 Depth=1
	s_delay_alu instid0(SALU_CYCLE_1) | instskip(SKIP_2) | instid1(VALU_DEP_1)
	s_or_b32 exec_lo, exec_lo, s0
	v_and_b32_e32 v8, 0xffff0000, v8
	s_mov_b32 s0, exec_lo
	v_mul_f32_e32 v8, v15, v8
	s_delay_alu instid0(VALU_DEP_1) | instskip(NEXT) | instid1(VALU_DEP_1)
	v_rndne_f32_e32 v8, v8
	v_cmpx_nle_f32_e32 0x4f000000, v8
	s_cbranch_execz .LBB11_96
; %bb.93:                               ;   in Loop: Header=BB11_64 Depth=1
	v_bfrev_b32_e32 v20, 1
	s_mov_b32 s5, exec_lo
	v_cmpx_nge_f32_e32 0xcf000000, v8
; %bb.94:                               ;   in Loop: Header=BB11_64 Depth=1
	v_cvt_i32_f32_e32 v20, v8
; %bb.95:                               ;   in Loop: Header=BB11_64 Depth=1
	s_or_b32 exec_lo, exec_lo, s5
.LBB11_96:                              ;   in Loop: Header=BB11_64 Depth=1
	s_delay_alu instid0(SALU_CYCLE_1) | instskip(SKIP_4) | instid1(VALU_DEP_2)
	s_or_b32 exec_lo, exec_lo, s0
	s_waitcnt vmcnt(0)
	v_lshlrev_b32_e32 v8, 16, v1
	v_bfrev_b32_e32 v21, -2
	s_mov_b32 s0, exec_lo
	v_mul_f32_e32 v8, v15, v8
	s_delay_alu instid0(VALU_DEP_1) | instskip(SKIP_1) | instid1(VALU_DEP_2)
	v_rndne_f32_e32 v22, v8
	v_bfrev_b32_e32 v8, -2
	v_cmpx_nle_f32_e32 0x4f000000, v22
	s_cbranch_execz .LBB11_100
; %bb.97:                               ;   in Loop: Header=BB11_64 Depth=1
	v_bfrev_b32_e32 v8, 1
	s_mov_b32 s5, exec_lo
	v_cmpx_nge_f32_e32 0xcf000000, v22
; %bb.98:                               ;   in Loop: Header=BB11_64 Depth=1
	v_cvt_i32_f32_e32 v8, v22
; %bb.99:                               ;   in Loop: Header=BB11_64 Depth=1
	s_or_b32 exec_lo, exec_lo, s5
.LBB11_100:                             ;   in Loop: Header=BB11_64 Depth=1
	s_delay_alu instid0(SALU_CYCLE_1) | instskip(SKIP_2) | instid1(VALU_DEP_1)
	s_or_b32 exec_lo, exec_lo, s0
	v_and_b32_e32 v1, 0xffff0000, v1
	s_mov_b32 s0, exec_lo
	v_mul_f32_e32 v1, v15, v1
	s_delay_alu instid0(VALU_DEP_1) | instskip(NEXT) | instid1(VALU_DEP_1)
	v_rndne_f32_e32 v1, v1
	v_cmpx_nle_f32_e32 0x4f000000, v1
	s_cbranch_execz .LBB11_104
; %bb.101:                              ;   in Loop: Header=BB11_64 Depth=1
	v_bfrev_b32_e32 v21, 1
	s_mov_b32 s5, exec_lo
	v_cmpx_nge_f32_e32 0xcf000000, v1
; %bb.102:                              ;   in Loop: Header=BB11_64 Depth=1
	v_cvt_i32_f32_e32 v21, v1
; %bb.103:                              ;   in Loop: Header=BB11_64 Depth=1
	s_or_b32 exec_lo, exec_lo, s5
.LBB11_104:                             ;   in Loop: Header=BB11_64 Depth=1
	s_delay_alu instid0(SALU_CYCLE_1) | instskip(SKIP_3) | instid1(VALU_DEP_2)
	s_or_b32 exec_lo, exec_lo, s0
	v_lshlrev_b32_e32 v1, 16, v2
	v_bfrev_b32_e32 v22, -2
	s_mov_b32 s0, exec_lo
	v_mul_f32_e32 v1, v15, v1
	s_delay_alu instid0(VALU_DEP_1) | instskip(SKIP_1) | instid1(VALU_DEP_2)
	v_rndne_f32_e32 v23, v1
	v_bfrev_b32_e32 v1, -2
	v_cmpx_nle_f32_e32 0x4f000000, v23
	s_cbranch_execz .LBB11_108
; %bb.105:                              ;   in Loop: Header=BB11_64 Depth=1
	v_bfrev_b32_e32 v1, 1
	s_mov_b32 s5, exec_lo
	v_cmpx_nge_f32_e32 0xcf000000, v23
; %bb.106:                              ;   in Loop: Header=BB11_64 Depth=1
	v_cvt_i32_f32_e32 v1, v23
; %bb.107:                              ;   in Loop: Header=BB11_64 Depth=1
	s_or_b32 exec_lo, exec_lo, s5
.LBB11_108:                             ;   in Loop: Header=BB11_64 Depth=1
	s_delay_alu instid0(SALU_CYCLE_1) | instskip(SKIP_2) | instid1(VALU_DEP_1)
	s_or_b32 exec_lo, exec_lo, s0
	v_and_b32_e32 v2, 0xffff0000, v2
	s_mov_b32 s0, exec_lo
	v_mul_f32_e32 v2, v15, v2
	s_delay_alu instid0(VALU_DEP_1) | instskip(NEXT) | instid1(VALU_DEP_1)
	v_rndne_f32_e32 v2, v2
	v_cmpx_nle_f32_e32 0x4f000000, v2
	s_cbranch_execz .LBB11_112
; %bb.109:                              ;   in Loop: Header=BB11_64 Depth=1
	v_bfrev_b32_e32 v22, 1
	s_mov_b32 s5, exec_lo
	v_cmpx_nge_f32_e32 0xcf000000, v2
; %bb.110:                              ;   in Loop: Header=BB11_64 Depth=1
	v_cvt_i32_f32_e32 v22, v2
; %bb.111:                              ;   in Loop: Header=BB11_64 Depth=1
	s_or_b32 exec_lo, exec_lo, s5
.LBB11_112:                             ;   in Loop: Header=BB11_64 Depth=1
	s_delay_alu instid0(SALU_CYCLE_1) | instskip(SKIP_3) | instid1(VALU_DEP_2)
	s_or_b32 exec_lo, exec_lo, s0
	v_lshlrev_b32_e32 v2, 16, v3
	v_bfrev_b32_e32 v23, -2
	s_mov_b32 s0, exec_lo
	v_mul_f32_e32 v2, v15, v2
	s_delay_alu instid0(VALU_DEP_1) | instskip(SKIP_1) | instid1(VALU_DEP_2)
	v_rndne_f32_e32 v24, v2
	v_bfrev_b32_e32 v2, -2
	v_cmpx_nle_f32_e32 0x4f000000, v24
	s_cbranch_execz .LBB11_116
; %bb.113:                              ;   in Loop: Header=BB11_64 Depth=1
	v_bfrev_b32_e32 v2, 1
	s_mov_b32 s5, exec_lo
	v_cmpx_nge_f32_e32 0xcf000000, v24
; %bb.114:                              ;   in Loop: Header=BB11_64 Depth=1
	v_cvt_i32_f32_e32 v2, v24
; %bb.115:                              ;   in Loop: Header=BB11_64 Depth=1
	s_or_b32 exec_lo, exec_lo, s5
.LBB11_116:                             ;   in Loop: Header=BB11_64 Depth=1
	;; [unrolled: 38-line block ×3, first 2 shown]
	s_delay_alu instid0(SALU_CYCLE_1) | instskip(SKIP_2) | instid1(VALU_DEP_1)
	s_or_b32 exec_lo, exec_lo, s0
	v_and_b32_e32 v4, 0xffff0000, v4
	s_mov_b32 s0, exec_lo
	v_mul_f32_e32 v4, v15, v4
	s_delay_alu instid0(VALU_DEP_1) | instskip(NEXT) | instid1(VALU_DEP_1)
	v_rndne_f32_e32 v4, v4
	v_cmpx_nle_f32_e32 0x4f000000, v4
	s_cbranch_execz .LBB11_63
; %bb.125:                              ;   in Loop: Header=BB11_64 Depth=1
	v_bfrev_b32_e32 v3, 1
	s_mov_b32 s5, exec_lo
	v_cmpx_nge_f32_e32 0xcf000000, v4
	s_cbranch_execz .LBB11_62
; %bb.126:                              ;   in Loop: Header=BB11_64 Depth=1
	v_cvt_i32_f32_e32 v3, v4
	s_branch .LBB11_62
.LBB11_127:
	s_or_b32 exec_lo, exec_lo, s56
	v_lshl_add_u32 v1, s55, 4, v0
	s_mov_b32 s1, exec_lo
	s_delay_alu instid0(VALU_DEP_1)
	v_cmpx_gt_i32_e64 s50, v1
	s_cbranch_execz .LBB11_139
; %bb.128:
	v_cvt_f32_u32_e32 v2, s31
	s_sub_i32 s0, 0, s31
	v_add_nc_u32_e32 v4, s31, v1
	s_cmp_eq_u32 s31, 1
	s_mov_b32 s3, 0
	v_rcp_iflag_f32_e32 v2, v2
	s_delay_alu instid0(VALU_DEP_1) | instskip(SKIP_3) | instid1(VALU_DEP_1)
	v_cmp_gt_i32_e32 vcc_lo, s50, v4
	v_max_i32_e32 v5, s50, v4
	s_waitcnt_depctr 0xfff
	v_mul_f32_e32 v2, 0x4f7ffffe, v2
	v_cvt_u32_f32_e32 v2, v2
	s_delay_alu instid0(VALU_DEP_1) | instskip(SKIP_1) | instid1(VALU_DEP_1)
	v_mul_lo_u32 v3, s0, v2
	v_add_co_ci_u32_e64 v4, s0, s31, v1, vcc_lo
	v_sub_nc_u32_e32 v4, v5, v4
	s_delay_alu instid0(VALU_DEP_3) | instskip(NEXT) | instid1(VALU_DEP_1)
	v_mul_hi_u32 v3, v2, v3
	v_add_nc_u32_e32 v2, v2, v3
	s_delay_alu instid0(VALU_DEP_1) | instskip(NEXT) | instid1(VALU_DEP_1)
	v_mul_hi_u32 v2, v4, v2
	v_mul_lo_u32 v3, v2, s31
	s_delay_alu instid0(VALU_DEP_1) | instskip(SKIP_1) | instid1(VALU_DEP_2)
	v_sub_nc_u32_e32 v3, v4, v3
	v_add_nc_u32_e32 v4, 1, v2
	v_subrev_nc_u32_e32 v5, s31, v3
	v_cmp_le_u32_e64 s0, s31, v3
	s_delay_alu instid0(VALU_DEP_1) | instskip(NEXT) | instid1(VALU_DEP_3)
	v_cndmask_b32_e64 v2, v2, v4, s0
	v_cndmask_b32_e64 v3, v3, v5, s0
	s_delay_alu instid0(VALU_DEP_2) | instskip(NEXT) | instid1(VALU_DEP_2)
	v_add_nc_u32_e32 v4, 1, v2
	v_cmp_le_u32_e64 s0, s31, v3
	s_delay_alu instid0(VALU_DEP_1) | instskip(SKIP_1) | instid1(VALU_DEP_1)
	v_cndmask_b32_e64 v2, v2, v4, s0
	s_cselect_b32 s0, -1, 0
	v_add_co_ci_u32_e32 v4, vcc_lo, 1, v2, vcc_lo
	s_delay_alu instid0(VALU_DEP_1)
	v_cmp_lt_u32_e32 vcc_lo, 1, v4
	s_and_b32 s4, vcc_lo, s0
	s_mov_b32 s0, -1
	s_and_saveexec_b32 s2, s4
	s_cbranch_execz .LBB11_132
; %bb.129:
	v_dual_mov_b32 v6, v9 :: v_dual_and_b32 v5, -2, v4
	v_mov_b32_e32 v2, v1
	s_movk_i32 s4, 0xff80
	s_delay_alu instid0(VALU_DEP_2)
	v_mov_b32_e32 v7, v5
.LBB11_130:                             ; =>This Inner Loop Header: Depth=1
	s_delay_alu instid0(VALU_DEP_2) | instskip(NEXT) | instid1(VALU_DEP_2)
	v_ashrrev_i32_e32 v3, 31, v2
	v_add_nc_u32_e32 v7, -2, v7
	s_delay_alu instid0(VALU_DEP_2) | instskip(NEXT) | instid1(VALU_DEP_1)
	v_lshlrev_b64 v[10:11], 1, v[2:3]
	v_add_co_u32 v10, vcc_lo, s51, v10
	s_delay_alu instid0(VALU_DEP_2) | instskip(SKIP_3) | instid1(VALU_DEP_1)
	v_add_co_ci_u32_e32 v11, vcc_lo, s52, v11, vcc_lo
	global_load_b32 v8, v[10:11], off
	s_waitcnt vmcnt(0)
	v_and_b32_e32 v10, 0xffff0000, v8
	v_mul_f32_e32 v10, v15, v10
	s_delay_alu instid0(VALU_DEP_1) | instskip(NEXT) | instid1(VALU_DEP_1)
	v_rndne_f32_e32 v10, v10
	v_cmp_nge_f32_e32 vcc_lo, 0xcf000000, v10
	v_dual_cndmask_b32 v11, 0xcf000000, v10 :: v_dual_lshlrev_b32 v8, 16, v8
	s_delay_alu instid0(VALU_DEP_1) | instskip(NEXT) | instid1(VALU_DEP_2)
	v_mul_f32_e32 v8, v15, v8
	v_cvt_i32_f32_e32 v11, v11
	s_delay_alu instid0(VALU_DEP_2) | instskip(NEXT) | instid1(VALU_DEP_1)
	v_rndne_f32_e32 v8, v8
	v_cmp_nge_f32_e32 vcc_lo, 0xcf000000, v8
	v_cndmask_b32_e32 v12, 0xcf000000, v8, vcc_lo
	v_cmp_nle_f32_e32 vcc_lo, 0x4f000000, v10
	s_delay_alu instid0(VALU_DEP_2) | instskip(SKIP_2) | instid1(VALU_DEP_2)
	v_cvt_i32_f32_e32 v12, v12
	v_cndmask_b32_e32 v10, 0x7fffffff, v11, vcc_lo
	v_cmp_nle_f32_e32 vcc_lo, 0x4f000000, v8
	v_add_nc_u32_e32 v10, v10, v6
	s_delay_alu instid0(VALU_DEP_4) | instskip(SKIP_1) | instid1(VALU_DEP_3)
	v_cndmask_b32_e32 v8, 0x7fffffff, v12, vcc_lo
	v_cmp_eq_u32_e32 vcc_lo, 0, v7
	v_med3_i32 v10, v10, s4, 0x7f
	s_delay_alu instid0(VALU_DEP_3) | instskip(SKIP_1) | instid1(VALU_DEP_2)
	v_add_nc_u32_e32 v8, v8, v9
	s_or_b32 s3, vcc_lo, s3
	v_lshlrev_b16 v12, 8, v10
	s_delay_alu instid0(VALU_DEP_2) | instskip(SKIP_1) | instid1(VALU_DEP_1)
	v_med3_i32 v8, v8, s4, 0x7f
	v_add_co_u32 v10, s0, s53, v2
	v_add_co_ci_u32_e64 v11, s0, s54, v3, s0
	s_delay_alu instid0(VALU_DEP_3) | instskip(SKIP_1) | instid1(VALU_DEP_2)
	v_and_b32_e32 v8, 0xff, v8
	v_add_nc_u32_e32 v2, 2, v2
	v_or_b32_e32 v3, v8, v12
	global_store_b16 v[10:11], v3, off
	s_and_not1_b32 exec_lo, exec_lo, s3
	s_cbranch_execnz .LBB11_130
; %bb.131:
	s_or_b32 exec_lo, exec_lo, s3
	v_cmp_ne_u32_e32 vcc_lo, v4, v5
	v_add_nc_u32_e32 v1, v1, v5
	s_or_not1_b32 s0, vcc_lo, exec_lo
.LBB11_132:
	s_or_b32 exec_lo, exec_lo, s2
	s_delay_alu instid0(SALU_CYCLE_1)
	s_and_b32 exec_lo, exec_lo, s0
	s_cbranch_execz .LBB11_139
; %bb.133:
	v_ashrrev_i32_e32 v2, 31, v1
	s_add_u32 s0, s38, s46
	s_addc_u32 s2, s39, s47
	s_add_u32 s0, s34, s0
	s_addc_u32 s2, s35, s2
	v_lshlrev_b64 v[3:4], 1, v[1:2]
	s_lshl_b32 s4, s31, 1
	s_add_u32 s3, s44, s36
	s_mov_b32 s5, 0
	s_movk_i32 s6, 0xff80
	s_delay_alu instid0(VALU_DEP_1)
	v_add_co_u32 v3, vcc_lo, s0, v3
	s_addc_u32 s0, s45, s37
	v_add_co_ci_u32_e32 v4, vcc_lo, s2, v4, vcc_lo
	s_add_u32 s2, s40, s3
	s_addc_u32 s0, s41, s0
	v_add_co_u32 v5, vcc_lo, s2, v1
	v_add_co_ci_u32_e32 v2, vcc_lo, s0, v2, vcc_lo
	s_mov_b64 s[2:3], 0
	s_set_inst_prefetch_distance 0x1
	s_branch .LBB11_136
	.p2align	6
.LBB11_134:                             ;   in Loop: Header=BB11_136 Depth=1
	s_or_b32 exec_lo, exec_lo, s7
.LBB11_135:                             ;   in Loop: Header=BB11_136 Depth=1
	s_delay_alu instid0(SALU_CYCLE_1)
	s_or_b32 exec_lo, exec_lo, s0
	v_add_co_u32 v7, vcc_lo, v5, s2
	s_add_u32 s2, s2, s31
	v_add_nc_u32_e32 v6, v6, v9
	v_add_nc_u32_e32 v10, s2, v1
	v_add_co_ci_u32_e32 v8, vcc_lo, s3, v2, vcc_lo
	v_add_co_u32 v3, s0, v3, s4
	s_delay_alu instid0(VALU_DEP_3)
	v_cmp_le_i32_e32 vcc_lo, s50, v10
	v_med3_i32 v6, v6, s6, 0x7f
	v_add_co_ci_u32_e64 v4, s0, 0, v4, s0
	s_addc_u32 s3, s3, 0
	s_or_b32 s5, vcc_lo, s5
	global_store_b8 v[7:8], v6, off
	s_and_not1_b32 exec_lo, exec_lo, s5
	s_cbranch_execz .LBB11_139
.LBB11_136:                             ; =>This Inner Loop Header: Depth=1
	global_load_u16 v6, v[3:4], off
	s_mov_b32 s0, exec_lo
	s_waitcnt vmcnt(0)
	v_lshlrev_b32_e32 v6, 16, v6
	s_delay_alu instid0(VALU_DEP_1) | instskip(NEXT) | instid1(VALU_DEP_1)
	v_mul_f32_e32 v6, v15, v6
	v_rndne_f32_e32 v7, v6
	v_bfrev_b32_e32 v6, -2
	s_delay_alu instid0(VALU_DEP_2)
	v_cmpx_nle_f32_e32 0x4f000000, v7
	s_cbranch_execz .LBB11_135
; %bb.137:                              ;   in Loop: Header=BB11_136 Depth=1
	v_bfrev_b32_e32 v6, 1
	s_mov_b32 s7, exec_lo
	v_cmpx_nge_f32_e32 0xcf000000, v7
	s_cbranch_execz .LBB11_134
; %bb.138:                              ;   in Loop: Header=BB11_136 Depth=1
	v_cvt_i32_f32_e32 v6, v7
	s_branch .LBB11_134
.LBB11_139:
	s_set_inst_prefetch_distance 0x2
	s_or_b32 exec_lo, exec_lo, s1
	s_mov_b32 s0, 0
.LBB11_140:
	s_delay_alu instid0(SALU_CYCLE_1)
	s_and_b32 vcc_lo, exec_lo, s0
	s_cbranch_vccz .LBB11_213
; %bb.141:
	s_ashr_i32 s44, s49, 4
	s_mov_b32 s0, exec_lo
	v_cmpx_gt_i32_e64 s44, v0
	s_cbranch_execz .LBB11_213
; %bb.142:
	v_cvt_f32_u32_e32 v1, s31
	s_sub_i32 s0, 0, s31
	v_add_nc_u32_e32 v3, s31, v0
	s_cmp_eq_u32 s31, 1
	s_mov_b32 s46, 0
	v_rcp_iflag_f32_e32 v1, v1
	s_delay_alu instid0(VALU_DEP_1) | instskip(SKIP_3) | instid1(VALU_DEP_1)
	v_cmp_gt_i32_e32 vcc_lo, s44, v3
	v_max_i32_e32 v4, s44, v3
	s_waitcnt_depctr 0xfff
	v_mul_f32_e32 v1, 0x4f7ffffe, v1
	v_cvt_u32_f32_e32 v1, v1
	s_delay_alu instid0(VALU_DEP_1) | instskip(SKIP_1) | instid1(VALU_DEP_1)
	v_mul_lo_u32 v2, s0, v1
	v_add_co_ci_u32_e64 v3, s0, s31, v0, vcc_lo
	v_sub_nc_u32_e32 v3, v4, v3
	s_delay_alu instid0(VALU_DEP_3) | instskip(NEXT) | instid1(VALU_DEP_1)
	v_mul_hi_u32 v2, v1, v2
	v_add_nc_u32_e32 v1, v1, v2
	s_delay_alu instid0(VALU_DEP_1) | instskip(NEXT) | instid1(VALU_DEP_1)
	v_mul_hi_u32 v1, v3, v1
	v_mul_lo_u32 v2, v1, s31
	s_delay_alu instid0(VALU_DEP_1) | instskip(SKIP_1) | instid1(VALU_DEP_2)
	v_sub_nc_u32_e32 v2, v3, v2
	v_add_nc_u32_e32 v3, 1, v1
	v_subrev_nc_u32_e32 v4, s31, v2
	v_cmp_le_u32_e64 s0, s31, v2
	s_delay_alu instid0(VALU_DEP_1) | instskip(NEXT) | instid1(VALU_DEP_3)
	v_cndmask_b32_e64 v1, v1, v3, s0
	v_cndmask_b32_e64 v2, v2, v4, s0
	s_delay_alu instid0(VALU_DEP_2) | instskip(NEXT) | instid1(VALU_DEP_2)
	v_add_nc_u32_e32 v3, 1, v1
	v_cmp_le_u32_e64 s0, s31, v2
	s_delay_alu instid0(VALU_DEP_1) | instskip(SKIP_1) | instid1(VALU_DEP_1)
	v_cndmask_b32_e64 v1, v1, v3, s0
	s_cselect_b32 s0, -1, 0
	v_add_co_ci_u32_e32 v5, vcc_lo, 1, v1, vcc_lo
	s_delay_alu instid0(VALU_DEP_1)
	v_cmp_lt_u32_e32 vcc_lo, 1, v5
	s_and_b32 s1, vcc_lo, s0
	s_mov_b32 s0, -1
	s_and_saveexec_b32 s45, s1
	s_cbranch_execz .LBB11_146
; %bb.143:
	v_dual_mov_b32 v2, 0 :: v_dual_add_nc_u32 v1, 1, v0
	v_dual_mov_b32 v7, v9 :: v_dual_and_b32 v6, -2, v5
	s_movk_i32 s47, 0xff80
	s_delay_alu instid0(VALU_DEP_2) | instskip(NEXT) | instid1(VALU_DEP_2)
	v_dual_mov_b32 v4, v1 :: v_dual_mov_b32 v3, v0
	v_mov_b32_e32 v8, v6
.LBB11_144:                             ; =>This Inner Loop Header: Depth=1
	s_delay_alu instid0(VALU_DEP_1) | instskip(NEXT) | instid1(VALU_DEP_3)
	v_dual_mov_b32 v1, v3 :: v_dual_add_nc_u32 v8, -2, v8
	v_dual_mov_b32 v10, v4 :: v_dual_mov_b32 v11, v2
	s_delay_alu instid0(VALU_DEP_2) | instskip(NEXT) | instid1(VALU_DEP_3)
	v_lshlrev_b64 v[12:13], 5, v[1:2]
	v_cmp_eq_u32_e32 vcc_lo, 0, v8
	v_lshlrev_b64 v[18:19], 4, v[1:2]
	s_delay_alu instid0(VALU_DEP_4) | instskip(SKIP_4) | instid1(VALU_DEP_4)
	v_lshlrev_b64 v[16:17], 5, v[10:11]
	v_lshlrev_b64 v[10:11], 4, v[10:11]
	s_or_b32 s46, vcc_lo, s46
	v_add_co_u32 v24, vcc_lo, s33, v12
	v_add_co_ci_u32_e32 v25, vcc_lo, s48, v13, vcc_lo
	v_add_co_u32 v20, vcc_lo, s33, v16
	v_add_co_ci_u32_e32 v21, vcc_lo, s48, v17, vcc_lo
	;; [unrolled: 2-line block ×4, first 2 shown]
	s_clause 0x3
	global_load_b128 v[10:13], v[24:25], off
	global_load_b128 v[16:19], v[20:21], off
	global_load_b128 v[20:23], v[20:21], off offset:16
	global_load_b128 v[24:27], v[24:25], off offset:16
	s_waitcnt vmcnt(2)
	v_lshlrev_b32_e32 v35, 16, v18
	v_lshlrev_b32_e32 v33, 16, v17
	s_waitcnt vmcnt(0)
	v_lshlrev_b32_e32 v44, 16, v27
	v_and_b32_e32 v27, 0xffff0000, v27
	v_lshlrev_b32_e32 v43, 16, v22
	v_and_b32_e32 v22, 0xffff0000, v22
	v_lshlrev_b32_e32 v14, 16, v16
	v_mul_f32_e32 v44, v15, v44
	v_mul_f32_e32 v27, v15, v27
	s_delay_alu instid0(VALU_DEP_4) | instskip(SKIP_2) | instid1(VALU_DEP_3)
	v_dual_mul_f32 v22, v15, v22 :: v_dual_lshlrev_b32 v45, 16, v23
	v_lshlrev_b32_e32 v42, 16, v26
	v_dual_mul_f32 v43, v15, v43 :: v_dual_lshlrev_b32 v40, 16, v25
	v_mul_f32_e32 v45, v15, v45
	s_delay_alu instid0(VALU_DEP_3) | instskip(SKIP_2) | instid1(VALU_DEP_3)
	v_dual_mul_f32 v42, v15, v42 :: v_dual_lshlrev_b32 v39, 16, v20
	v_lshlrev_b32_e32 v36, 16, v13
	v_and_b32_e32 v25, 0xffff0000, v25
	v_dual_mul_f32 v39, v15, v39 :: v_dual_and_b32 v20, 0xffff0000, v20
	s_delay_alu instid0(VALU_DEP_3) | instskip(NEXT) | instid1(VALU_DEP_3)
	v_dual_mul_f32 v36, v15, v36 :: v_dual_and_b32 v13, 0xffff0000, v13
	v_dual_mul_f32 v25, v15, v25 :: v_dual_and_b32 v18, 0xffff0000, v18
	s_delay_alu instid0(VALU_DEP_3) | instskip(NEXT) | instid1(VALU_DEP_3)
	v_dual_mul_f32 v20, v15, v20 :: v_dual_lshlrev_b32 v41, 16, v21
	v_mul_f32_e32 v13, v15, v13
	s_delay_alu instid0(VALU_DEP_3) | instskip(SKIP_1) | instid1(VALU_DEP_4)
	v_dual_mul_f32 v18, v15, v18 :: v_dual_lshlrev_b32 v37, 16, v19
	v_lshlrev_b32_e32 v32, 16, v11
	v_dual_mul_f32 v41, v15, v41 :: v_dual_lshlrev_b32 v38, 16, v24
	s_delay_alu instid0(VALU_DEP_3) | instskip(NEXT) | instid1(VALU_DEP_3)
	v_mul_f32_e32 v37, v15, v37
	v_dual_mul_f32 v32, v15, v32 :: v_dual_and_b32 v11, 0xffff0000, v11
	v_and_b32_e32 v16, 0xffff0000, v16
	v_lshlrev_b32_e32 v34, 16, v12
	v_dual_mul_f32 v38, v15, v38 :: v_dual_and_b32 v19, 0xffff0000, v19
	s_delay_alu instid0(VALU_DEP_4) | instskip(NEXT) | instid1(VALU_DEP_4)
	v_dual_mul_f32 v11, v15, v11 :: v_dual_and_b32 v12, 0xffff0000, v12
	v_dual_mul_f32 v16, v15, v16 :: v_dual_lshlrev_b32 v1, 16, v10
	s_delay_alu instid0(VALU_DEP_3) | instskip(NEXT) | instid1(VALU_DEP_3)
	v_dual_mul_f32 v19, v15, v19 :: v_dual_add_nc_u32 v4, 2, v4
	v_mul_f32_e32 v12, v15, v12
	s_delay_alu instid0(VALU_DEP_3) | instskip(SKIP_3) | instid1(VALU_DEP_4)
	v_mul_f32_e32 v1, v15, v1
	v_mul_f32_e32 v35, v15, v35
	v_dual_mul_f32 v34, v15, v34 :: v_dual_and_b32 v17, 0xffff0000, v17
	v_and_b32_e32 v10, 0xffff0000, v10
	v_rndne_f32_e32 v1, v1
	v_rndne_f32_e32 v16, v16
	s_delay_alu instid0(VALU_DEP_4)
	v_mul_f32_e32 v17, v15, v17
	v_rndne_f32_e32 v32, v32
	v_mul_f32_e32 v10, v15, v10
	v_mul_f32_e32 v33, v15, v33
	v_dual_mul_f32 v14, v15, v14 :: v_dual_add_nc_u32 v3, 2, v3
	v_cmp_nge_f32_e32 vcc_lo, 0xcf000000, v1
	s_delay_alu instid0(VALU_DEP_4) | instskip(NEXT) | instid1(VALU_DEP_4)
	v_rndne_f32_e32 v10, v10
	v_rndne_f32_e32 v33, v33
	;; [unrolled: 1-line block ×4, first 2 shown]
	v_cndmask_b32_e32 v46, 0xcf000000, v1, vcc_lo
	v_rndne_f32_e32 v17, v17
	v_rndne_f32_e32 v34, v34
	;; [unrolled: 1-line block ×3, first 2 shown]
	v_cmp_nge_f32_e32 vcc_lo, 0xcf000000, v14
	v_rndne_f32_e32 v12, v12
	v_rndne_f32_e32 v18, v18
	;; [unrolled: 1-line block ×4, first 2 shown]
	v_cndmask_b32_e32 v47, 0xcf000000, v14, vcc_lo
	v_cmp_nge_f32_e32 vcc_lo, 0xcf000000, v10
	v_rndne_f32_e32 v13, v13
	v_rndne_f32_e32 v19, v19
	v_dual_mul_f32 v40, v15, v40 :: v_dual_and_b32 v21, 0xffff0000, v21
	v_cndmask_b32_e32 v48, 0xcf000000, v10, vcc_lo
	v_cmp_nge_f32_e32 vcc_lo, 0xcf000000, v16
	s_delay_alu instid0(VALU_DEP_3)
	v_dual_mul_f32 v21, v15, v21 :: v_dual_and_b32 v24, 0xffff0000, v24
	v_rndne_f32_e32 v38, v38
	v_rndne_f32_e32 v39, v39
	v_cndmask_b32_e32 v49, 0xcf000000, v16, vcc_lo
	v_cmp_nge_f32_e32 vcc_lo, 0xcf000000, v32
	v_mul_f32_e32 v24, v15, v24
	v_rndne_f32_e32 v20, v20
	v_rndne_f32_e32 v40, v40
	;; [unrolled: 1-line block ×3, first 2 shown]
	v_cndmask_b32_e32 v50, 0xcf000000, v32, vcc_lo
	v_cmp_nge_f32_e32 vcc_lo, 0xcf000000, v33
	v_rndne_f32_e32 v24, v24
	v_rndne_f32_e32 v25, v25
	v_rndne_f32_e32 v21, v21
	v_and_b32_e32 v23, 0xffff0000, v23
	v_cndmask_b32_e32 v51, 0xcf000000, v33, vcc_lo
	v_cmp_nge_f32_e32 vcc_lo, 0xcf000000, v11
	v_and_b32_e32 v26, 0xffff0000, v26
	v_rndne_f32_e32 v42, v42
	v_mul_f32_e32 v23, v15, v23
	v_rndne_f32_e32 v43, v43
	v_cndmask_b32_e32 v52, 0xcf000000, v11, vcc_lo
	v_cmp_nge_f32_e32 vcc_lo, 0xcf000000, v17
	v_mul_f32_e32 v26, v15, v26
	v_rndne_f32_e32 v22, v22
	v_rndne_f32_e32 v44, v44
	;; [unrolled: 1-line block ×3, first 2 shown]
	v_cndmask_b32_e32 v53, 0xcf000000, v17, vcc_lo
	v_cmp_nge_f32_e32 vcc_lo, 0xcf000000, v34
	v_rndne_f32_e32 v26, v26
	v_rndne_f32_e32 v27, v27
	;; [unrolled: 1-line block ×3, first 2 shown]
	v_cmp_nle_f32_e64 s30, 0x4f000000, v1
	v_cndmask_b32_e32 v54, 0xcf000000, v34, vcc_lo
	v_cmp_nge_f32_e32 vcc_lo, 0xcf000000, v35
	v_cmp_nle_f32_e64 s0, 0x4f000000, v16
	v_cmp_nle_f32_e64 s1, 0x4f000000, v10
	v_cmp_nle_f32_e64 s5, 0x4f000000, v11
	v_cmp_nle_f32_e64 s6, 0x4f000000, v35
	v_cndmask_b32_e32 v55, 0xcf000000, v35, vcc_lo
	v_cmp_nge_f32_e32 vcc_lo, 0xcf000000, v12
	v_cmp_nle_f32_e64 s7, 0x4f000000, v34
	v_cmp_nle_f32_e64 s8, 0x4f000000, v18
	v_cmp_nle_f32_e64 s9, 0x4f000000, v12
	;; [unrolled: 6-line block ×4, first 2 shown]
	v_cmp_nle_f32_e64 s19, 0x4f000000, v40
	v_cndmask_b32_e32 v58, 0xcf000000, v36, vcc_lo
	v_cmp_nge_f32_e32 vcc_lo, 0xcf000000, v37
	v_cmp_nle_f32_e64 s20, 0x4f000000, v21
	v_cmp_nle_f32_e64 s2, 0x4f000000, v33
	v_cvt_i32_f32_e32 v33, v50
	v_cmp_nle_f32_e64 s3, 0x4f000000, v32
	v_cndmask_b32_e32 v59, 0xcf000000, v37, vcc_lo
	v_cmp_nge_f32_e32 vcc_lo, 0xcf000000, v13
	v_cmp_nle_f32_e64 s4, 0x4f000000, v17
	v_cvt_i32_f32_e32 v17, v52
	v_cmp_nle_f32_e64 s10, 0x4f000000, v37
	v_cvt_i32_f32_e32 v37, v58
	v_cndmask_b32_e32 v60, 0xcf000000, v13, vcc_lo
	v_cmp_nge_f32_e32 vcc_lo, 0xcf000000, v19
	v_cndmask_b32_e64 v33, 0x7fffffff, v33, s3
	v_cndmask_b32_e64 v17, 0x7fffffff, v17, s5
	;; [unrolled: 1-line block ×3, first 2 shown]
	v_cmp_nle_f32_e64 s24, 0x4f000000, v22
	v_cndmask_b32_e32 v61, 0xcf000000, v19, vcc_lo
	v_cmp_nge_f32_e32 vcc_lo, 0xcf000000, v38
	v_cmp_nle_f32_e64 s25, 0x4f000000, v26
	v_add_nc_u32_e32 v33, v33, v9
	v_add_nc_u32_e32 v17, v17, v9
	v_cvt_i32_f32_e32 v47, v47
	v_cndmask_b32_e32 v62, 0xcf000000, v38, vcc_lo
	v_cmp_nge_f32_e32 vcc_lo, 0xcf000000, v39
	v_cmp_nle_f32_e64 s23, 0x4f000000, v42
	v_add_nc_u32_e32 v37, v37, v9
	v_med3_i32 v33, v33, s47, 0x7f
	v_med3_i32 v17, v17, s47, 0x7f
	v_cndmask_b32_e32 v63, 0xcf000000, v39, vcc_lo
	v_cmp_nge_f32_e32 vcc_lo, 0xcf000000, v24
	v_med3_i32 v37, v37, s47, 0x7f
	v_cmp_nle_f32_e64 s21, 0x4f000000, v25
	v_cmp_nle_f32_e64 s22, 0x4f000000, v43
	v_cvt_i32_f32_e32 v10, v51
	v_cndmask_b32_e32 v64, 0xcf000000, v24, vcc_lo
	v_cmp_nge_f32_e32 vcc_lo, 0xcf000000, v20
	v_cvt_i32_f32_e32 v32, v53
	v_cvt_i32_f32_e32 v34, v57
	v_cvt_i32_f32_e32 v12, v59
	v_cmp_nle_f32_e64 s26, 0x4f000000, v45
	v_cndmask_b32_e32 v65, 0xcf000000, v20, vcc_lo
	v_cmp_nge_f32_e32 vcc_lo, 0xcf000000, v40
	v_cvt_i32_f32_e32 v20, v64
	v_cmp_nle_f32_e64 s27, 0x4f000000, v44
	v_cmp_nle_f32_e64 s28, 0x4f000000, v23
	;; [unrolled: 1-line block ×3, first 2 shown]
	v_cndmask_b32_e32 v66, 0xcf000000, v40, vcc_lo
	v_cmp_nge_f32_e32 vcc_lo, 0xcf000000, v41
	v_cndmask_b32_e64 v20, 0x7fffffff, v20, s17
	v_cndmask_b32_e64 v10, 0x7fffffff, v10, s2
	;; [unrolled: 1-line block ×4, first 2 shown]
	v_cndmask_b32_e32 v67, 0xcf000000, v41, vcc_lo
	v_cmp_nge_f32_e32 vcc_lo, 0xcf000000, v25
	v_add_nc_u32_e32 v20, v20, v9
	v_cvt_i32_f32_e32 v13, v63
	v_cvt_i32_f32_e32 v41, v66
	v_cndmask_b32_e64 v12, 0x7fffffff, v12, s10
	v_cndmask_b32_e32 v68, 0xcf000000, v25, vcc_lo
	v_cmp_nge_f32_e32 vcc_lo, 0xcf000000, v21
	v_cndmask_b32_e64 v13, 0x7fffffff, v13, s14
	v_cndmask_b32_e64 v41, 0x7fffffff, v41, s19
	v_med3_i32 v20, v20, s47, 0x7f
	v_dual_cndmask_b32 v69, 0xcf000000, v21 :: v_dual_add_nc_u32 v10, v10, v7
	v_cmp_nge_f32_e32 vcc_lo, 0xcf000000, v42
	v_add_nc_u32_e32 v13, v13, v7
	v_cvt_i32_f32_e32 v19, v60
	v_add_nc_u32_e32 v41, v41, v9
	v_add_nc_u32_e32 v32, v32, v7
	v_cndmask_b32_e32 v70, 0xcf000000, v42, vcc_lo
	v_cmp_nge_f32_e32 vcc_lo, 0xcf000000, v43
	v_cndmask_b32_e64 v19, 0x7fffffff, v19, s13
	v_med3_i32 v41, v41, s47, 0x7f
	v_add_nc_u32_e32 v34, v34, v7
	v_add_nc_u32_e32 v12, v12, v7
	v_cndmask_b32_e32 v71, 0xcf000000, v43, vcc_lo
	v_cmp_nge_f32_e32 vcc_lo, 0xcf000000, v26
	v_add_nc_u32_e32 v19, v19, v9
	v_cvt_i32_f32_e32 v39, v62
	v_med3_i32 v10, v10, s47, 0x7f
	v_med3_i32 v32, v32, s47, 0x7f
	v_cndmask_b32_e32 v72, 0xcf000000, v26, vcc_lo
	v_cmp_nge_f32_e32 vcc_lo, 0xcf000000, v22
	v_cndmask_b32_e64 v39, 0x7fffffff, v39, s15
	v_med3_i32 v19, v19, s47, 0x7f
	v_med3_i32 v34, v34, s47, 0x7f
	;; [unrolled: 1-line block ×3, first 2 shown]
	v_cndmask_b32_e32 v73, 0xcf000000, v22, vcc_lo
	v_cmp_nge_f32_e32 vcc_lo, 0xcf000000, v44
	v_cvt_i32_f32_e32 v22, v72
	v_add_nc_u32_e32 v39, v39, v9
	v_med3_i32 v13, v13, s47, 0x7f
	v_and_b32_e32 v10, 0xff, v10
	v_cndmask_b32_e32 v74, 0xcf000000, v44, vcc_lo
	v_cmp_nge_f32_e32 vcc_lo, 0xcf000000, v45
	v_cndmask_b32_e64 v22, 0x7fffffff, v22, s25
	v_med3_i32 v39, v39, s47, 0x7f
	v_lshlrev_b16 v32, 8, v32
	v_lshlrev_b16 v34, 8, v34
	v_cndmask_b32_e32 v75, 0xcf000000, v45, vcc_lo
	v_cmp_nge_f32_e32 vcc_lo, 0xcf000000, v27
	v_add_nc_u32_e32 v22, v22, v9
	v_cvt_i32_f32_e32 v25, v71
	v_cvt_i32_f32_e32 v45, v74
	v_and_b32_e32 v12, 0xff, v12
	v_cndmask_b32_e32 v76, 0xcf000000, v27, vcc_lo
	v_cmp_nge_f32_e32 vcc_lo, 0xcf000000, v23
	v_cndmask_b32_e64 v25, 0x7fffffff, v25, s22
	v_and_b32_e32 v13, 0xff, v13
	v_cndmask_b32_e64 v45, 0x7fffffff, v45, s27
	v_or_b32_e32 v10, v10, v32
	v_cndmask_b32_e32 v77, 0xcf000000, v23, vcc_lo
	v_cmp_nle_f32_e32 vcc_lo, 0x4f000000, v14
	v_cvt_i32_f32_e32 v14, v46
	v_add_nc_u32_e32 v25, v25, v7
	v_cvt_i32_f32_e32 v21, v68
	v_cvt_i32_f32_e32 v44, v77
	;; [unrolled: 1-line block ×3, first 2 shown]
	v_cndmask_b32_e64 v1, 0x7fffffff, v14, s30
	v_med3_i32 v25, v25, s47, 0x7f
	v_cndmask_b32_e64 v21, 0x7fffffff, v21, s21
	v_cndmask_b32_e64 v44, 0x7fffffff, v44, s28
	;; [unrolled: 1-line block ×3, first 2 shown]
	v_add_nc_u32_e32 v1, v1, v9
	v_cvt_i32_f32_e32 v16, v48
	v_add_nc_u32_e32 v21, v21, v9
	v_add_nc_u32_e32 v44, v44, v7
	v_cvt_i32_f32_e32 v43, v70
	v_med3_i32 v1, v1, s47, 0x7f
	v_cndmask_b32_e64 v16, 0x7fffffff, v16, s1
	v_and_b32_e32 v25, 0xff, v25
	v_med3_i32 v44, v44, s47, 0x7f
	v_cndmask_b32_e64 v43, 0x7fffffff, v43, s23
	v_add_nc_u32_e32 v45, v45, v9
	v_add_nc_u32_e32 v16, v16, v9
	v_cvt_i32_f32_e32 v11, v55
	v_lshlrev_b16 v44, 8, v44
	v_add_nc_u32_e32 v43, v43, v9
	v_add_nc_u32_e32 v23, v23, v9
	v_med3_i32 v16, v16, s47, 0x7f
	v_cndmask_b32_e64 v11, 0x7fffffff, v11, s6
	v_lshlrev_b32_e32 v10, 16, v10
	v_med3_i32 v21, v21, s47, 0x7f
	v_med3_i32 v43, v43, s47, 0x7f
	;; [unrolled: 1-line block ×3, first 2 shown]
	v_add_nc_u32_e32 v11, v11, v7
	v_cvt_i32_f32_e32 v35, v54
	v_med3_i32 v45, v45, s47, 0x7f
	v_med3_i32 v23, v23, s47, 0x7f
	s_delay_alu instid0(VALU_DEP_4) | instskip(NEXT) | instid1(VALU_DEP_4)
	v_med3_i32 v11, v11, s47, 0x7f
	v_cndmask_b32_e64 v35, 0x7fffffff, v35, s7
	s_delay_alu instid0(VALU_DEP_2) | instskip(NEXT) | instid1(VALU_DEP_2)
	v_and_b32_e32 v11, 0xff, v11
	v_add_nc_u32_e32 v35, v35, v9
	v_cvt_i32_f32_e32 v18, v56
	s_delay_alu instid0(VALU_DEP_3) | instskip(NEXT) | instid1(VALU_DEP_3)
	v_or_b32_e32 v11, v11, v34
	v_med3_i32 v35, v35, s47, 0x7f
	s_delay_alu instid0(VALU_DEP_3) | instskip(NEXT) | instid1(VALU_DEP_3)
	v_cndmask_b32_e64 v18, 0x7fffffff, v18, s9
	v_and_b32_e32 v11, 0xffff, v11
	s_delay_alu instid0(VALU_DEP_2) | instskip(SKIP_1) | instid1(VALU_DEP_2)
	v_add_nc_u32_e32 v18, v18, v9
	v_cvt_i32_f32_e32 v36, v61
	v_med3_i32 v18, v18, s47, 0x7f
	s_delay_alu instid0(VALU_DEP_2)
	v_cndmask_b32_e64 v36, 0x7fffffff, v36, s12
	s_clause 0xb
	global_store_b8 v[28:29], v1, off
	global_store_b8 v[28:29], v16, off offset:1
	global_store_b8 v[28:29], v33, off offset:2
	;; [unrolled: 1-line block ×11, first 2 shown]
	v_add_nc_u32_e32 v36, v36, v7
	v_cvt_i32_f32_e32 v38, v65
	s_delay_alu instid0(VALU_DEP_2) | instskip(NEXT) | instid1(VALU_DEP_2)
	v_med3_i32 v36, v36, s47, 0x7f
	v_cndmask_b32_e64 v38, 0x7fffffff, v38, s16
	s_delay_alu instid0(VALU_DEP_2) | instskip(NEXT) | instid1(VALU_DEP_2)
	v_lshlrev_b16 v36, 8, v36
	v_add_nc_u32_e32 v38, v38, v7
	v_cvt_i32_f32_e32 v24, v67
	s_delay_alu instid0(VALU_DEP_3) | instskip(NEXT) | instid1(VALU_DEP_3)
	v_or_b32_e32 v12, v12, v36
	v_med3_i32 v38, v38, s47, 0x7f
	s_delay_alu instid0(VALU_DEP_3) | instskip(NEXT) | instid1(VALU_DEP_3)
	v_cndmask_b32_e64 v24, 0x7fffffff, v24, s18
	v_lshlrev_b32_e32 v19, 16, v12
	s_delay_alu instid0(VALU_DEP_3) | instskip(NEXT) | instid1(VALU_DEP_3)
	v_lshlrev_b16 v38, 8, v38
	v_add_nc_u32_e32 v24, v24, v7
	v_cvt_i32_f32_e32 v40, v69
	s_delay_alu instid0(VALU_DEP_4) | instskip(NEXT) | instid1(VALU_DEP_4)
	v_or_b32_e32 v11, v11, v19
	v_or_b32_e32 v13, v13, v38
	s_delay_alu instid0(VALU_DEP_4) | instskip(NEXT) | instid1(VALU_DEP_4)
	v_med3_i32 v24, v24, s47, 0x7f
	v_cndmask_b32_e64 v40, 0x7fffffff, v40, s20
	s_delay_alu instid0(VALU_DEP_3) | instskip(NEXT) | instid1(VALU_DEP_3)
	v_and_b32_e32 v18, 0xffff, v13
	v_and_b32_e32 v24, 0xff, v24
	s_delay_alu instid0(VALU_DEP_3) | instskip(SKIP_1) | instid1(VALU_DEP_2)
	v_add_nc_u32_e32 v40, v40, v7
	v_cvt_i32_f32_e32 v42, v73
	v_med3_i32 v40, v40, s47, 0x7f
	s_delay_alu instid0(VALU_DEP_2) | instskip(NEXT) | instid1(VALU_DEP_2)
	v_cndmask_b32_e64 v42, 0x7fffffff, v42, s24
	v_lshlrev_b16 v40, 8, v40
	s_delay_alu instid0(VALU_DEP_2) | instskip(SKIP_1) | instid1(VALU_DEP_3)
	v_add_nc_u32_e32 v42, v42, v7
	v_cvt_i32_f32_e32 v26, v75
	v_or_b32_e32 v17, v24, v40
	v_cndmask_b32_e32 v14, 0x7fffffff, v47, vcc_lo
	s_delay_alu instid0(VALU_DEP_3) | instskip(SKIP_1) | instid1(VALU_DEP_4)
	v_cndmask_b32_e64 v26, 0x7fffffff, v26, s26
	v_med3_i32 v42, v42, s47, 0x7f
	v_lshlrev_b32_e32 v17, 16, v17
	s_delay_alu instid0(VALU_DEP_4)
	v_add_nc_u32_e32 v14, v14, v7
	v_cvt_i32_f32_e32 v46, v49
	v_add_nc_u32_e32 v26, v26, v7
	v_lshlrev_b16 v42, 8, v42
	v_or_b32_e32 v12, v18, v17
	v_med3_i32 v14, v14, s47, 0x7f
	v_cndmask_b32_e64 v27, 0x7fffffff, v46, s0
	v_med3_i32 v26, v26, s47, 0x7f
	s_delay_alu instid0(VALU_DEP_3) | instskip(NEXT) | instid1(VALU_DEP_3)
	v_and_b32_e32 v14, 0xff, v14
	v_add_nc_u32_e32 v27, v27, v7
	s_delay_alu instid0(VALU_DEP_3) | instskip(NEXT) | instid1(VALU_DEP_2)
	v_and_b32_e32 v26, 0xff, v26
	v_med3_i32 v27, v27, s47, 0x7f
	s_delay_alu instid0(VALU_DEP_2) | instskip(NEXT) | instid1(VALU_DEP_2)
	v_or_b32_e32 v16, v26, v44
	v_lshlrev_b16 v27, 8, v27
	s_delay_alu instid0(VALU_DEP_2) | instskip(NEXT) | instid1(VALU_DEP_2)
	v_lshlrev_b32_e32 v16, 16, v16
	v_or_b32_e32 v1, v14, v27
	v_or_b32_e32 v14, v25, v42
	s_delay_alu instid0(VALU_DEP_2) | instskip(NEXT) | instid1(VALU_DEP_2)
	v_and_b32_e32 v1, 0xffff, v1
	v_and_b32_e32 v14, 0xffff, v14
	s_delay_alu instid0(VALU_DEP_2) | instskip(NEXT) | instid1(VALU_DEP_2)
	v_or_b32_e32 v10, v1, v10
	v_or_b32_e32 v13, v14, v16
	s_clause 0x4
	global_store_b8 v[28:29], v43, off offset:12
	global_store_b8 v[28:29], v22, off offset:13
	;; [unrolled: 1-line block ×4, first 2 shown]
	global_store_b128 v[30:31], v[10:13], off
	s_and_not1_b32 exec_lo, exec_lo, s46
	s_cbranch_execnz .LBB11_144
; %bb.145:
	s_or_b32 exec_lo, exec_lo, s46
	v_cmp_ne_u32_e32 vcc_lo, v5, v6
	v_add_nc_u32_e32 v0, v0, v6
	s_or_not1_b32 s0, vcc_lo, exec_lo
.LBB11_146:
	s_or_b32 exec_lo, exec_lo, s45
	s_delay_alu instid0(SALU_CYCLE_1)
	s_and_b32 exec_lo, exec_lo, s0
	s_cbranch_execz .LBB11_213
; %bb.147:
	v_mov_b32_e32 v1, 0
	s_add_u32 s0, s40, s36
	s_addc_u32 s2, s41, s37
	s_lshl_b32 s1, s31, 4
	s_add_u32 s3, s34, s38
	v_lshlrev_b64 v[2:3], 4, v[0:1]
	v_lshlrev_b64 v[4:5], 5, v[0:1]
	s_addc_u32 s4, s35, s39
	s_delay_alu instid0(VALU_DEP_2) | instskip(NEXT) | instid1(VALU_DEP_3)
	v_add_co_u32 v10, vcc_lo, s0, v2
	v_add_co_ci_u32_e32 v11, vcc_lo, s2, v3, vcc_lo
	s_delay_alu instid0(VALU_DEP_3) | instskip(NEXT) | instid1(VALU_DEP_4)
	v_add_co_u32 v12, vcc_lo, s3, v4
	v_add_co_ci_u32_e32 v13, vcc_lo, s4, v5, vcc_lo
	s_mov_b32 s2, 0
	s_lshl_b32 s3, s31, 5
	s_movk_i32 s4, 0xff80
	s_branch .LBB11_150
.LBB11_148:                             ;   in Loop: Header=BB11_150 Depth=1
	s_or_b32 exec_lo, exec_lo, s5
.LBB11_149:                             ;   in Loop: Header=BB11_150 Depth=1
	s_delay_alu instid0(SALU_CYCLE_1)
	s_or_b32 exec_lo, exec_lo, s0
	v_add_nc_u32_e32 v4, v23, v9
	v_add_nc_u32_e32 v20, v20, v9
	;; [unrolled: 1-line block ×5, first 2 shown]
	v_med3_i32 v4, v4, s4, 0x7f
	v_med3_i32 v20, v20, s4, 0x7f
	;; [unrolled: 1-line block ×4, first 2 shown]
	v_add_nc_u32_e32 v2, v2, v9
	v_add_nc_u32_e32 v21, v21, v9
	;; [unrolled: 1-line block ×9, first 2 shown]
	v_lshlrev_b16 v3, 8, v3
	v_and_b32_e32 v4, 0xff, v4
	v_lshlrev_b16 v20, 8, v20
	v_and_b32_e32 v8, 0xff, v8
	v_add_nc_u32_e32 v14, v14, v9
	v_add_nc_u32_e32 v16, v16, v9
	v_med3_i32 v22, v22, s4, 0x7f
	v_med3_i32 v2, v2, s4, 0x7f
	;; [unrolled: 1-line block ×10, first 2 shown]
	v_or_b32_e32 v3, v4, v3
	v_or_b32_e32 v4, v8, v20
	v_med3_i32 v8, v14, s4, 0x7f
	v_med3_i32 v14, v16, s4, 0x7f
	v_lshlrev_b16 v22, 8, v22
	v_and_b32_e32 v2, 0xff, v2
	v_and_b32_e32 v16, 0xffff, v4
	v_lshlrev_b16 v4, 8, v21
	v_and_b32_e32 v1, 0xff, v1
	v_lshlrev_b16 v18, 8, v18
	;; [unrolled: 2-line block ×5, first 2 shown]
	v_and_b32_e32 v17, 0xff, v17
	v_or_b32_e32 v2, v2, v22
	v_or_b32_e32 v1, v1, v4
	;; [unrolled: 1-line block ×6, first 2 shown]
	v_and_b32_e32 v2, 0xffff, v2
	v_lshlrev_b32_e32 v3, 16, v3
	v_lshlrev_b32_e32 v1, 16, v1
	v_and_b32_e32 v8, 0xffff, v4
	v_lshlrev_b32_e32 v6, 16, v6
	v_and_b32_e32 v7, 0xffff, v7
	v_lshlrev_b32_e32 v5, 16, v5
	v_or_b32_e32 v4, v2, v3
	v_or_b32_e32 v3, v16, v1
	;; [unrolled: 1-line block ×3, first 2 shown]
	v_add_nc_u32_e32 v0, s31, v0
	v_or_b32_e32 v1, v7, v5
	v_add_co_u32 v12, s0, v12, s3
	s_delay_alu instid0(VALU_DEP_1)
	v_add_co_ci_u32_e64 v13, s0, 0, v13, s0
	global_store_b128 v[10:11], v[1:4], off
	v_add_co_u32 v10, vcc_lo, v10, s1
	v_add_co_ci_u32_e32 v11, vcc_lo, 0, v11, vcc_lo
	v_cmp_le_i32_e32 vcc_lo, s44, v0
	s_or_b32 s2, vcc_lo, s2
	s_delay_alu instid0(SALU_CYCLE_1)
	s_and_not1_b32 exec_lo, exec_lo, s2
	s_cbranch_execz .LBB11_213
.LBB11_150:                             ; =>This Inner Loop Header: Depth=1
	s_clause 0x1
	global_load_b128 v[5:8], v[12:13], off
	global_load_b128 v[1:4], v[12:13], off offset:16
	v_bfrev_b32_e32 v16, -2
	s_mov_b32 s0, exec_lo
	s_waitcnt vmcnt(1)
	v_lshlrev_b32_e32 v14, 16, v5
	s_delay_alu instid0(VALU_DEP_1) | instskip(NEXT) | instid1(VALU_DEP_1)
	v_mul_f32_e32 v14, v15, v14
	v_rndne_f32_e32 v17, v14
	v_bfrev_b32_e32 v14, -2
	s_delay_alu instid0(VALU_DEP_2)
	v_cmpx_nle_f32_e32 0x4f000000, v17
	s_cbranch_execz .LBB11_154
; %bb.151:                              ;   in Loop: Header=BB11_150 Depth=1
	v_bfrev_b32_e32 v16, 1
	s_mov_b32 s5, exec_lo
	v_cmpx_nge_f32_e32 0xcf000000, v17
; %bb.152:                              ;   in Loop: Header=BB11_150 Depth=1
	v_cvt_i32_f32_e32 v16, v17
; %bb.153:                              ;   in Loop: Header=BB11_150 Depth=1
	s_or_b32 exec_lo, exec_lo, s5
.LBB11_154:                             ;   in Loop: Header=BB11_150 Depth=1
	s_delay_alu instid0(SALU_CYCLE_1) | instskip(SKIP_2) | instid1(VALU_DEP_1)
	s_or_b32 exec_lo, exec_lo, s0
	v_and_b32_e32 v5, 0xffff0000, v5
	s_mov_b32 s0, exec_lo
	v_mul_f32_e32 v5, v15, v5
	s_delay_alu instid0(VALU_DEP_1) | instskip(NEXT) | instid1(VALU_DEP_1)
	v_rndne_f32_e32 v5, v5
	v_cmpx_nle_f32_e32 0x4f000000, v5
	s_cbranch_execz .LBB11_158
; %bb.155:                              ;   in Loop: Header=BB11_150 Depth=1
	v_bfrev_b32_e32 v14, 1
	s_mov_b32 s5, exec_lo
	v_cmpx_nge_f32_e32 0xcf000000, v5
; %bb.156:                              ;   in Loop: Header=BB11_150 Depth=1
	v_cvt_i32_f32_e32 v14, v5
; %bb.157:                              ;   in Loop: Header=BB11_150 Depth=1
	s_or_b32 exec_lo, exec_lo, s5
.LBB11_158:                             ;   in Loop: Header=BB11_150 Depth=1
	s_delay_alu instid0(SALU_CYCLE_1) | instskip(SKIP_3) | instid1(VALU_DEP_2)
	s_or_b32 exec_lo, exec_lo, s0
	v_lshlrev_b32_e32 v5, 16, v6
	v_bfrev_b32_e32 v17, -2
	s_mov_b32 s0, exec_lo
	v_mul_f32_e32 v5, v15, v5
	s_delay_alu instid0(VALU_DEP_1) | instskip(SKIP_1) | instid1(VALU_DEP_2)
	v_rndne_f32_e32 v18, v5
	v_bfrev_b32_e32 v5, -2
	v_cmpx_nle_f32_e32 0x4f000000, v18
	s_cbranch_execz .LBB11_162
; %bb.159:                              ;   in Loop: Header=BB11_150 Depth=1
	v_bfrev_b32_e32 v17, 1
	s_mov_b32 s5, exec_lo
	v_cmpx_nge_f32_e32 0xcf000000, v18
; %bb.160:                              ;   in Loop: Header=BB11_150 Depth=1
	v_cvt_i32_f32_e32 v17, v18
; %bb.161:                              ;   in Loop: Header=BB11_150 Depth=1
	s_or_b32 exec_lo, exec_lo, s5
.LBB11_162:                             ;   in Loop: Header=BB11_150 Depth=1
	s_delay_alu instid0(SALU_CYCLE_1) | instskip(SKIP_2) | instid1(VALU_DEP_1)
	s_or_b32 exec_lo, exec_lo, s0
	v_and_b32_e32 v6, 0xffff0000, v6
	s_mov_b32 s0, exec_lo
	v_mul_f32_e32 v6, v15, v6
	s_delay_alu instid0(VALU_DEP_1) | instskip(NEXT) | instid1(VALU_DEP_1)
	v_rndne_f32_e32 v6, v6
	v_cmpx_nle_f32_e32 0x4f000000, v6
	s_cbranch_execz .LBB11_166
; %bb.163:                              ;   in Loop: Header=BB11_150 Depth=1
	v_bfrev_b32_e32 v5, 1
	s_mov_b32 s5, exec_lo
	v_cmpx_nge_f32_e32 0xcf000000, v6
; %bb.164:                              ;   in Loop: Header=BB11_150 Depth=1
	v_cvt_i32_f32_e32 v5, v6
; %bb.165:                              ;   in Loop: Header=BB11_150 Depth=1
	s_or_b32 exec_lo, exec_lo, s5
.LBB11_166:                             ;   in Loop: Header=BB11_150 Depth=1
	s_delay_alu instid0(SALU_CYCLE_1) | instskip(SKIP_3) | instid1(VALU_DEP_2)
	s_or_b32 exec_lo, exec_lo, s0
	v_lshlrev_b32_e32 v6, 16, v7
	v_bfrev_b32_e32 v18, -2
	s_mov_b32 s0, exec_lo
	v_mul_f32_e32 v6, v15, v6
	s_delay_alu instid0(VALU_DEP_1) | instskip(SKIP_1) | instid1(VALU_DEP_2)
	v_rndne_f32_e32 v19, v6
	v_bfrev_b32_e32 v6, -2
	;; [unrolled: 38-line block ×3, first 2 shown]
	v_cmpx_nle_f32_e32 0x4f000000, v20
	s_cbranch_execz .LBB11_178
; %bb.175:                              ;   in Loop: Header=BB11_150 Depth=1
	v_bfrev_b32_e32 v7, 1
	s_mov_b32 s5, exec_lo
	v_cmpx_nge_f32_e32 0xcf000000, v20
; %bb.176:                              ;   in Loop: Header=BB11_150 Depth=1
	v_cvt_i32_f32_e32 v7, v20
; %bb.177:                              ;   in Loop: Header=BB11_150 Depth=1
	s_or_b32 exec_lo, exec_lo, s5
.LBB11_178:                             ;   in Loop: Header=BB11_150 Depth=1
	s_delay_alu instid0(SALU_CYCLE_1) | instskip(SKIP_2) | instid1(VALU_DEP_1)
	s_or_b32 exec_lo, exec_lo, s0
	v_and_b32_e32 v8, 0xffff0000, v8
	s_mov_b32 s0, exec_lo
	v_mul_f32_e32 v8, v15, v8
	s_delay_alu instid0(VALU_DEP_1) | instskip(NEXT) | instid1(VALU_DEP_1)
	v_rndne_f32_e32 v8, v8
	v_cmpx_nle_f32_e32 0x4f000000, v8
	s_cbranch_execz .LBB11_182
; %bb.179:                              ;   in Loop: Header=BB11_150 Depth=1
	v_bfrev_b32_e32 v19, 1
	s_mov_b32 s5, exec_lo
	v_cmpx_nge_f32_e32 0xcf000000, v8
; %bb.180:                              ;   in Loop: Header=BB11_150 Depth=1
	v_cvt_i32_f32_e32 v19, v8
; %bb.181:                              ;   in Loop: Header=BB11_150 Depth=1
	s_or_b32 exec_lo, exec_lo, s5
.LBB11_182:                             ;   in Loop: Header=BB11_150 Depth=1
	s_delay_alu instid0(SALU_CYCLE_1) | instskip(SKIP_4) | instid1(VALU_DEP_2)
	s_or_b32 exec_lo, exec_lo, s0
	s_waitcnt vmcnt(0)
	v_lshlrev_b32_e32 v8, 16, v1
	v_bfrev_b32_e32 v20, -2
	s_mov_b32 s0, exec_lo
	v_mul_f32_e32 v8, v15, v8
	s_delay_alu instid0(VALU_DEP_1) | instskip(SKIP_1) | instid1(VALU_DEP_2)
	v_rndne_f32_e32 v21, v8
	v_bfrev_b32_e32 v8, -2
	v_cmpx_nle_f32_e32 0x4f000000, v21
	s_cbranch_execz .LBB11_186
; %bb.183:                              ;   in Loop: Header=BB11_150 Depth=1
	v_bfrev_b32_e32 v8, 1
	s_mov_b32 s5, exec_lo
	v_cmpx_nge_f32_e32 0xcf000000, v21
; %bb.184:                              ;   in Loop: Header=BB11_150 Depth=1
	v_cvt_i32_f32_e32 v8, v21
; %bb.185:                              ;   in Loop: Header=BB11_150 Depth=1
	s_or_b32 exec_lo, exec_lo, s5
.LBB11_186:                             ;   in Loop: Header=BB11_150 Depth=1
	s_delay_alu instid0(SALU_CYCLE_1) | instskip(SKIP_2) | instid1(VALU_DEP_1)
	s_or_b32 exec_lo, exec_lo, s0
	v_and_b32_e32 v1, 0xffff0000, v1
	s_mov_b32 s0, exec_lo
	v_mul_f32_e32 v1, v15, v1
	s_delay_alu instid0(VALU_DEP_1) | instskip(NEXT) | instid1(VALU_DEP_1)
	v_rndne_f32_e32 v1, v1
	v_cmpx_nle_f32_e32 0x4f000000, v1
	s_cbranch_execz .LBB11_190
; %bb.187:                              ;   in Loop: Header=BB11_150 Depth=1
	v_bfrev_b32_e32 v20, 1
	s_mov_b32 s5, exec_lo
	v_cmpx_nge_f32_e32 0xcf000000, v1
; %bb.188:                              ;   in Loop: Header=BB11_150 Depth=1
	v_cvt_i32_f32_e32 v20, v1
; %bb.189:                              ;   in Loop: Header=BB11_150 Depth=1
	s_or_b32 exec_lo, exec_lo, s5
.LBB11_190:                             ;   in Loop: Header=BB11_150 Depth=1
	s_delay_alu instid0(SALU_CYCLE_1) | instskip(SKIP_3) | instid1(VALU_DEP_2)
	s_or_b32 exec_lo, exec_lo, s0
	v_lshlrev_b32_e32 v1, 16, v2
	v_bfrev_b32_e32 v21, -2
	s_mov_b32 s0, exec_lo
	v_mul_f32_e32 v1, v15, v1
	s_delay_alu instid0(VALU_DEP_1) | instskip(SKIP_1) | instid1(VALU_DEP_2)
	v_rndne_f32_e32 v22, v1
	v_bfrev_b32_e32 v1, -2
	v_cmpx_nle_f32_e32 0x4f000000, v22
	s_cbranch_execz .LBB11_194
; %bb.191:                              ;   in Loop: Header=BB11_150 Depth=1
	v_bfrev_b32_e32 v1, 1
	s_mov_b32 s5, exec_lo
	v_cmpx_nge_f32_e32 0xcf000000, v22
; %bb.192:                              ;   in Loop: Header=BB11_150 Depth=1
	v_cvt_i32_f32_e32 v1, v22
; %bb.193:                              ;   in Loop: Header=BB11_150 Depth=1
	s_or_b32 exec_lo, exec_lo, s5
.LBB11_194:                             ;   in Loop: Header=BB11_150 Depth=1
	s_delay_alu instid0(SALU_CYCLE_1) | instskip(SKIP_2) | instid1(VALU_DEP_1)
	s_or_b32 exec_lo, exec_lo, s0
	v_and_b32_e32 v2, 0xffff0000, v2
	s_mov_b32 s0, exec_lo
	v_mul_f32_e32 v2, v15, v2
	s_delay_alu instid0(VALU_DEP_1) | instskip(NEXT) | instid1(VALU_DEP_1)
	v_rndne_f32_e32 v2, v2
	v_cmpx_nle_f32_e32 0x4f000000, v2
	s_cbranch_execz .LBB11_198
; %bb.195:                              ;   in Loop: Header=BB11_150 Depth=1
	v_bfrev_b32_e32 v21, 1
	s_mov_b32 s5, exec_lo
	v_cmpx_nge_f32_e32 0xcf000000, v2
; %bb.196:                              ;   in Loop: Header=BB11_150 Depth=1
	v_cvt_i32_f32_e32 v21, v2
; %bb.197:                              ;   in Loop: Header=BB11_150 Depth=1
	s_or_b32 exec_lo, exec_lo, s5
.LBB11_198:                             ;   in Loop: Header=BB11_150 Depth=1
	s_delay_alu instid0(SALU_CYCLE_1) | instskip(SKIP_3) | instid1(VALU_DEP_2)
	s_or_b32 exec_lo, exec_lo, s0
	;; [unrolled: 38-line block ×3, first 2 shown]
	v_lshlrev_b32_e32 v3, 16, v4
	v_bfrev_b32_e32 v23, -2
	s_mov_b32 s0, exec_lo
	v_mul_f32_e32 v3, v15, v3
	s_delay_alu instid0(VALU_DEP_1) | instskip(SKIP_1) | instid1(VALU_DEP_2)
	v_rndne_f32_e32 v24, v3
	v_bfrev_b32_e32 v3, -2
	v_cmpx_nle_f32_e32 0x4f000000, v24
	s_cbranch_execz .LBB11_210
; %bb.207:                              ;   in Loop: Header=BB11_150 Depth=1
	v_bfrev_b32_e32 v23, 1
	s_mov_b32 s5, exec_lo
	v_cmpx_nge_f32_e32 0xcf000000, v24
; %bb.208:                              ;   in Loop: Header=BB11_150 Depth=1
	v_cvt_i32_f32_e32 v23, v24
; %bb.209:                              ;   in Loop: Header=BB11_150 Depth=1
	s_or_b32 exec_lo, exec_lo, s5
.LBB11_210:                             ;   in Loop: Header=BB11_150 Depth=1
	s_delay_alu instid0(SALU_CYCLE_1) | instskip(SKIP_2) | instid1(VALU_DEP_1)
	s_or_b32 exec_lo, exec_lo, s0
	v_and_b32_e32 v4, 0xffff0000, v4
	s_mov_b32 s0, exec_lo
	v_mul_f32_e32 v4, v15, v4
	s_delay_alu instid0(VALU_DEP_1) | instskip(NEXT) | instid1(VALU_DEP_1)
	v_rndne_f32_e32 v4, v4
	v_cmpx_nle_f32_e32 0x4f000000, v4
	s_cbranch_execz .LBB11_149
; %bb.211:                              ;   in Loop: Header=BB11_150 Depth=1
	v_bfrev_b32_e32 v3, 1
	s_mov_b32 s5, exec_lo
	v_cmpx_nge_f32_e32 0xcf000000, v4
	s_cbranch_execz .LBB11_148
; %bb.212:                              ;   in Loop: Header=BB11_150 Depth=1
	v_cvt_i32_f32_e32 v3, v4
	s_branch .LBB11_148
.LBB11_213:
	s_nop 0
	s_sendmsg sendmsg(MSG_DEALLOC_VGPRS)
	s_endpgm
	.section	.rodata,"a",@progbits
	.p2align	6, 0x0
	.amdhsa_kernel _ZN4vllm36dynamic_scaled_int8_azp_quant_kernelIN3c108BFloat16EfiEEvPKT_PaPT0_PT1_i
		.amdhsa_group_segment_fixed_size 72
		.amdhsa_private_segment_fixed_size 0
		.amdhsa_kernarg_size 296
		.amdhsa_user_sgpr_count 15
		.amdhsa_user_sgpr_dispatch_ptr 0
		.amdhsa_user_sgpr_queue_ptr 0
		.amdhsa_user_sgpr_kernarg_segment_ptr 1
		.amdhsa_user_sgpr_dispatch_id 0
		.amdhsa_user_sgpr_private_segment_size 0
		.amdhsa_wavefront_size32 1
		.amdhsa_uses_dynamic_stack 0
		.amdhsa_enable_private_segment 0
		.amdhsa_system_sgpr_workgroup_id_x 1
		.amdhsa_system_sgpr_workgroup_id_y 0
		.amdhsa_system_sgpr_workgroup_id_z 0
		.amdhsa_system_sgpr_workgroup_info 0
		.amdhsa_system_vgpr_workitem_id 0
		.amdhsa_next_free_vgpr 78
		.amdhsa_next_free_sgpr 60
		.amdhsa_reserve_vcc 1
		.amdhsa_float_round_mode_32 0
		.amdhsa_float_round_mode_16_64 0
		.amdhsa_float_denorm_mode_32 3
		.amdhsa_float_denorm_mode_16_64 3
		.amdhsa_dx10_clamp 1
		.amdhsa_ieee_mode 1
		.amdhsa_fp16_overflow 0
		.amdhsa_workgroup_processor_mode 1
		.amdhsa_memory_ordered 1
		.amdhsa_forward_progress 0
		.amdhsa_shared_vgpr_count 0
		.amdhsa_exception_fp_ieee_invalid_op 0
		.amdhsa_exception_fp_denorm_src 0
		.amdhsa_exception_fp_ieee_div_zero 0
		.amdhsa_exception_fp_ieee_overflow 0
		.amdhsa_exception_fp_ieee_underflow 0
		.amdhsa_exception_fp_ieee_inexact 0
		.amdhsa_exception_int_div_zero 0
	.end_amdhsa_kernel
	.section	.text._ZN4vllm36dynamic_scaled_int8_azp_quant_kernelIN3c108BFloat16EfiEEvPKT_PaPT0_PT1_i,"axG",@progbits,_ZN4vllm36dynamic_scaled_int8_azp_quant_kernelIN3c108BFloat16EfiEEvPKT_PaPT0_PT1_i,comdat
.Lfunc_end11:
	.size	_ZN4vllm36dynamic_scaled_int8_azp_quant_kernelIN3c108BFloat16EfiEEvPKT_PaPT0_PT1_i, .Lfunc_end11-_ZN4vllm36dynamic_scaled_int8_azp_quant_kernelIN3c108BFloat16EfiEEvPKT_PaPT0_PT1_i
                                        ; -- End function
	.section	.AMDGPU.csdata,"",@progbits
; Kernel info:
; codeLenInByte = 14904
; NumSgprs: 62
; NumVgprs: 78
; ScratchSize: 0
; MemoryBound: 0
; FloatMode: 240
; IeeeMode: 1
; LDSByteSize: 72 bytes/workgroup (compile time only)
; SGPRBlocks: 7
; VGPRBlocks: 9
; NumSGPRsForWavesPerEU: 62
; NumVGPRsForWavesPerEU: 78
; Occupancy: 16
; WaveLimiterHint : 0
; COMPUTE_PGM_RSRC2:SCRATCH_EN: 0
; COMPUTE_PGM_RSRC2:USER_SGPR: 15
; COMPUTE_PGM_RSRC2:TRAP_HANDLER: 0
; COMPUTE_PGM_RSRC2:TGID_X_EN: 1
; COMPUTE_PGM_RSRC2:TGID_Y_EN: 0
; COMPUTE_PGM_RSRC2:TGID_Z_EN: 0
; COMPUTE_PGM_RSRC2:TIDIG_COMP_CNT: 0
	.text
	.p2alignl 7, 3214868480
	.fill 96, 4, 3214868480
	.type	__hip_cuid_89ca2d8169de9159,@object ; @__hip_cuid_89ca2d8169de9159
	.section	.bss,"aw",@nobits
	.globl	__hip_cuid_89ca2d8169de9159
__hip_cuid_89ca2d8169de9159:
	.byte	0                               ; 0x0
	.size	__hip_cuid_89ca2d8169de9159, 1

	.ident	"AMD clang version 19.0.0git (https://github.com/RadeonOpenCompute/llvm-project roc-6.4.0 25133 c7fe45cf4b819c5991fe208aaa96edf142730f1d)"
	.section	".note.GNU-stack","",@progbits
	.addrsig
	.addrsig_sym __hip_cuid_89ca2d8169de9159
	.amdgpu_metadata
---
amdhsa.kernels:
  - .args:
      - .address_space:  global
        .offset:         0
        .size:           8
        .value_kind:     global_buffer
      - .actual_access:  write_only
        .address_space:  global
        .offset:         8
        .size:           8
        .value_kind:     global_buffer
      - .address_space:  global
        .offset:         16
        .size:           8
        .value_kind:     global_buffer
      - .offset:         24
        .size:           4
        .value_kind:     by_value
      - .offset:         32
        .size:           4
        .value_kind:     hidden_block_count_x
      - .offset:         36
        .size:           4
        .value_kind:     hidden_block_count_y
      - .offset:         40
        .size:           4
        .value_kind:     hidden_block_count_z
      - .offset:         44
        .size:           2
        .value_kind:     hidden_group_size_x
      - .offset:         46
        .size:           2
        .value_kind:     hidden_group_size_y
      - .offset:         48
        .size:           2
        .value_kind:     hidden_group_size_z
      - .offset:         50
        .size:           2
        .value_kind:     hidden_remainder_x
      - .offset:         52
        .size:           2
        .value_kind:     hidden_remainder_y
      - .offset:         54
        .size:           2
        .value_kind:     hidden_remainder_z
      - .offset:         72
        .size:           8
        .value_kind:     hidden_global_offset_x
      - .offset:         80
        .size:           8
        .value_kind:     hidden_global_offset_y
      - .offset:         88
        .size:           8
        .value_kind:     hidden_global_offset_z
      - .offset:         96
        .size:           2
        .value_kind:     hidden_grid_dims
    .group_segment_fixed_size: 0
    .kernarg_segment_align: 8
    .kernarg_segment_size: 288
    .language:       OpenCL C
    .language_version:
      - 2
      - 0
    .max_flat_workgroup_size: 1024
    .name:           _ZN4vllm31static_scaled_int8_quant_kernelIffEEvPKT_PaPKT0_i
    .private_segment_fixed_size: 0
    .sgpr_count:     38
    .sgpr_spill_count: 0
    .symbol:         _ZN4vllm31static_scaled_int8_quant_kernelIffEEvPKT_PaPKT0_i.kd
    .uniform_work_group_size: 1
    .uses_dynamic_stack: false
    .vgpr_count:     93
    .vgpr_spill_count: 0
    .wavefront_size: 32
    .workgroup_processor_mode: 1
  - .args:
      - .address_space:  global
        .offset:         0
        .size:           8
        .value_kind:     global_buffer
      - .actual_access:  write_only
        .address_space:  global
        .offset:         8
        .size:           8
        .value_kind:     global_buffer
      - .address_space:  global
        .offset:         16
        .size:           8
        .value_kind:     global_buffer
      - .address_space:  global
        .offset:         24
        .size:           8
        .value_kind:     global_buffer
      - .offset:         32
        .size:           4
        .value_kind:     by_value
      - .offset:         40
        .size:           4
        .value_kind:     hidden_block_count_x
      - .offset:         44
        .size:           4
        .value_kind:     hidden_block_count_y
      - .offset:         48
        .size:           4
        .value_kind:     hidden_block_count_z
      - .offset:         52
        .size:           2
        .value_kind:     hidden_group_size_x
      - .offset:         54
        .size:           2
        .value_kind:     hidden_group_size_y
      - .offset:         56
        .size:           2
        .value_kind:     hidden_group_size_z
      - .offset:         58
        .size:           2
        .value_kind:     hidden_remainder_x
      - .offset:         60
        .size:           2
        .value_kind:     hidden_remainder_y
      - .offset:         62
        .size:           2
        .value_kind:     hidden_remainder_z
      - .offset:         80
        .size:           8
        .value_kind:     hidden_global_offset_x
      - .offset:         88
        .size:           8
        .value_kind:     hidden_global_offset_y
      - .offset:         96
        .size:           8
        .value_kind:     hidden_global_offset_z
      - .offset:         104
        .size:           2
        .value_kind:     hidden_grid_dims
    .group_segment_fixed_size: 0
    .kernarg_segment_align: 8
    .kernarg_segment_size: 296
    .language:       OpenCL C
    .language_version:
      - 2
      - 0
    .max_flat_workgroup_size: 1024
    .name:           _ZN4vllm35static_scaled_int8_azp_quant_kernelIffiEEvPKT_PaPKT0_PKT1_i
    .private_segment_fixed_size: 0
    .sgpr_count:     24
    .sgpr_spill_count: 0
    .symbol:         _ZN4vllm35static_scaled_int8_azp_quant_kernelIffiEEvPKT_PaPKT0_PKT1_i.kd
    .uniform_work_group_size: 1
    .uses_dynamic_stack: false
    .vgpr_count:     25
    .vgpr_spill_count: 0
    .wavefront_size: 32
    .workgroup_processor_mode: 1
  - .args:
      - .address_space:  global
        .offset:         0
        .size:           8
        .value_kind:     global_buffer
      - .actual_access:  write_only
        .address_space:  global
        .offset:         8
        .size:           8
        .value_kind:     global_buffer
      - .address_space:  global
        .offset:         16
        .size:           8
        .value_kind:     global_buffer
      - .offset:         24
        .size:           4
        .value_kind:     by_value
      - .offset:         32
        .size:           4
        .value_kind:     hidden_block_count_x
      - .offset:         36
        .size:           4
        .value_kind:     hidden_block_count_y
      - .offset:         40
        .size:           4
        .value_kind:     hidden_block_count_z
      - .offset:         44
        .size:           2
        .value_kind:     hidden_group_size_x
      - .offset:         46
        .size:           2
        .value_kind:     hidden_group_size_y
      - .offset:         48
        .size:           2
        .value_kind:     hidden_group_size_z
      - .offset:         50
        .size:           2
        .value_kind:     hidden_remainder_x
      - .offset:         52
        .size:           2
        .value_kind:     hidden_remainder_y
      - .offset:         54
        .size:           2
        .value_kind:     hidden_remainder_z
      - .offset:         72
        .size:           8
        .value_kind:     hidden_global_offset_x
      - .offset:         80
        .size:           8
        .value_kind:     hidden_global_offset_y
      - .offset:         88
        .size:           8
        .value_kind:     hidden_global_offset_z
      - .offset:         96
        .size:           2
        .value_kind:     hidden_grid_dims
    .group_segment_fixed_size: 0
    .kernarg_segment_align: 8
    .kernarg_segment_size: 288
    .language:       OpenCL C
    .language_version:
      - 2
      - 0
    .max_flat_workgroup_size: 1024
    .name:           _ZN4vllm31static_scaled_int8_quant_kernelIN3c104HalfEfEEvPKT_PaPKT0_i
    .private_segment_fixed_size: 0
    .sgpr_count:     42
    .sgpr_spill_count: 0
    .symbol:         _ZN4vllm31static_scaled_int8_quant_kernelIN3c104HalfEfEEvPKT_PaPKT0_i.kd
    .uniform_work_group_size: 1
    .uses_dynamic_stack: false
    .vgpr_count:     94
    .vgpr_spill_count: 0
    .wavefront_size: 32
    .workgroup_processor_mode: 1
  - .args:
      - .address_space:  global
        .offset:         0
        .size:           8
        .value_kind:     global_buffer
      - .actual_access:  write_only
        .address_space:  global
        .offset:         8
        .size:           8
        .value_kind:     global_buffer
      - .address_space:  global
        .offset:         16
        .size:           8
        .value_kind:     global_buffer
      - .address_space:  global
        .offset:         24
        .size:           8
        .value_kind:     global_buffer
      - .offset:         32
        .size:           4
        .value_kind:     by_value
      - .offset:         40
        .size:           4
        .value_kind:     hidden_block_count_x
      - .offset:         44
        .size:           4
        .value_kind:     hidden_block_count_y
      - .offset:         48
        .size:           4
        .value_kind:     hidden_block_count_z
      - .offset:         52
        .size:           2
        .value_kind:     hidden_group_size_x
      - .offset:         54
        .size:           2
        .value_kind:     hidden_group_size_y
      - .offset:         56
        .size:           2
        .value_kind:     hidden_group_size_z
      - .offset:         58
        .size:           2
        .value_kind:     hidden_remainder_x
      - .offset:         60
        .size:           2
        .value_kind:     hidden_remainder_y
      - .offset:         62
        .size:           2
        .value_kind:     hidden_remainder_z
      - .offset:         80
        .size:           8
        .value_kind:     hidden_global_offset_x
      - .offset:         88
        .size:           8
        .value_kind:     hidden_global_offset_y
      - .offset:         96
        .size:           8
        .value_kind:     hidden_global_offset_z
      - .offset:         104
        .size:           2
        .value_kind:     hidden_grid_dims
    .group_segment_fixed_size: 0
    .kernarg_segment_align: 8
    .kernarg_segment_size: 296
    .language:       OpenCL C
    .language_version:
      - 2
      - 0
    .max_flat_workgroup_size: 1024
    .name:           _ZN4vllm35static_scaled_int8_azp_quant_kernelIN3c104HalfEfiEEvPKT_PaPKT0_PKT1_i
    .private_segment_fixed_size: 0
    .sgpr_count:     48
    .sgpr_spill_count: 0
    .symbol:         _ZN4vllm35static_scaled_int8_azp_quant_kernelIN3c104HalfEfiEEvPKT_PaPKT0_PKT1_i.kd
    .uniform_work_group_size: 1
    .uses_dynamic_stack: false
    .vgpr_count:     61
    .vgpr_spill_count: 0
    .wavefront_size: 32
    .workgroup_processor_mode: 1
  - .args:
      - .address_space:  global
        .offset:         0
        .size:           8
        .value_kind:     global_buffer
      - .actual_access:  write_only
        .address_space:  global
        .offset:         8
        .size:           8
        .value_kind:     global_buffer
      - .address_space:  global
        .offset:         16
        .size:           8
        .value_kind:     global_buffer
      - .offset:         24
        .size:           4
        .value_kind:     by_value
      - .offset:         32
        .size:           4
        .value_kind:     hidden_block_count_x
      - .offset:         36
        .size:           4
        .value_kind:     hidden_block_count_y
      - .offset:         40
        .size:           4
        .value_kind:     hidden_block_count_z
      - .offset:         44
        .size:           2
        .value_kind:     hidden_group_size_x
      - .offset:         46
        .size:           2
        .value_kind:     hidden_group_size_y
      - .offset:         48
        .size:           2
        .value_kind:     hidden_group_size_z
      - .offset:         50
        .size:           2
        .value_kind:     hidden_remainder_x
      - .offset:         52
        .size:           2
        .value_kind:     hidden_remainder_y
      - .offset:         54
        .size:           2
        .value_kind:     hidden_remainder_z
      - .offset:         72
        .size:           8
        .value_kind:     hidden_global_offset_x
      - .offset:         80
        .size:           8
        .value_kind:     hidden_global_offset_y
      - .offset:         88
        .size:           8
        .value_kind:     hidden_global_offset_z
      - .offset:         96
        .size:           2
        .value_kind:     hidden_grid_dims
    .group_segment_fixed_size: 0
    .kernarg_segment_align: 8
    .kernarg_segment_size: 288
    .language:       OpenCL C
    .language_version:
      - 2
      - 0
    .max_flat_workgroup_size: 1024
    .name:           _ZN4vllm31static_scaled_int8_quant_kernelIN3c108BFloat16EfEEvPKT_PaPKT0_i
    .private_segment_fixed_size: 0
    .sgpr_count:     42
    .sgpr_spill_count: 0
    .symbol:         _ZN4vllm31static_scaled_int8_quant_kernelIN3c108BFloat16EfEEvPKT_PaPKT0_i.kd
    .uniform_work_group_size: 1
    .uses_dynamic_stack: false
    .vgpr_count:     94
    .vgpr_spill_count: 0
    .wavefront_size: 32
    .workgroup_processor_mode: 1
  - .args:
      - .address_space:  global
        .offset:         0
        .size:           8
        .value_kind:     global_buffer
      - .actual_access:  write_only
        .address_space:  global
        .offset:         8
        .size:           8
        .value_kind:     global_buffer
      - .address_space:  global
        .offset:         16
        .size:           8
        .value_kind:     global_buffer
      - .address_space:  global
        .offset:         24
        .size:           8
        .value_kind:     global_buffer
      - .offset:         32
        .size:           4
        .value_kind:     by_value
      - .offset:         40
        .size:           4
        .value_kind:     hidden_block_count_x
      - .offset:         44
        .size:           4
        .value_kind:     hidden_block_count_y
      - .offset:         48
        .size:           4
        .value_kind:     hidden_block_count_z
      - .offset:         52
        .size:           2
        .value_kind:     hidden_group_size_x
      - .offset:         54
        .size:           2
        .value_kind:     hidden_group_size_y
      - .offset:         56
        .size:           2
        .value_kind:     hidden_group_size_z
      - .offset:         58
        .size:           2
        .value_kind:     hidden_remainder_x
      - .offset:         60
        .size:           2
        .value_kind:     hidden_remainder_y
      - .offset:         62
        .size:           2
        .value_kind:     hidden_remainder_z
      - .offset:         80
        .size:           8
        .value_kind:     hidden_global_offset_x
      - .offset:         88
        .size:           8
        .value_kind:     hidden_global_offset_y
      - .offset:         96
        .size:           8
        .value_kind:     hidden_global_offset_z
      - .offset:         104
        .size:           2
        .value_kind:     hidden_grid_dims
    .group_segment_fixed_size: 0
    .kernarg_segment_align: 8
    .kernarg_segment_size: 296
    .language:       OpenCL C
    .language_version:
      - 2
      - 0
    .max_flat_workgroup_size: 1024
    .name:           _ZN4vllm35static_scaled_int8_azp_quant_kernelIN3c108BFloat16EfiEEvPKT_PaPKT0_PKT1_i
    .private_segment_fixed_size: 0
    .sgpr_count:     64
    .sgpr_spill_count: 0
    .symbol:         _ZN4vllm35static_scaled_int8_azp_quant_kernelIN3c108BFloat16EfiEEvPKT_PaPKT0_PKT1_i.kd
    .uniform_work_group_size: 1
    .uses_dynamic_stack: false
    .vgpr_count:     76
    .vgpr_spill_count: 0
    .wavefront_size: 32
    .workgroup_processor_mode: 1
  - .args:
      - .address_space:  global
        .offset:         0
        .size:           8
        .value_kind:     global_buffer
      - .actual_access:  write_only
        .address_space:  global
        .offset:         8
        .size:           8
        .value_kind:     global_buffer
      - .address_space:  global
        .offset:         16
        .size:           8
        .value_kind:     global_buffer
      - .offset:         24
        .size:           4
        .value_kind:     by_value
      - .offset:         32
        .size:           4
        .value_kind:     hidden_block_count_x
      - .offset:         36
        .size:           4
        .value_kind:     hidden_block_count_y
      - .offset:         40
        .size:           4
        .value_kind:     hidden_block_count_z
      - .offset:         44
        .size:           2
        .value_kind:     hidden_group_size_x
      - .offset:         46
        .size:           2
        .value_kind:     hidden_group_size_y
      - .offset:         48
        .size:           2
        .value_kind:     hidden_group_size_z
      - .offset:         50
        .size:           2
        .value_kind:     hidden_remainder_x
      - .offset:         52
        .size:           2
        .value_kind:     hidden_remainder_y
      - .offset:         54
        .size:           2
        .value_kind:     hidden_remainder_z
      - .offset:         72
        .size:           8
        .value_kind:     hidden_global_offset_x
      - .offset:         80
        .size:           8
        .value_kind:     hidden_global_offset_y
      - .offset:         88
        .size:           8
        .value_kind:     hidden_global_offset_z
      - .offset:         96
        .size:           2
        .value_kind:     hidden_grid_dims
    .group_segment_fixed_size: 36
    .kernarg_segment_align: 8
    .kernarg_segment_size: 288
    .language:       OpenCL C
    .language_version:
      - 2
      - 0
    .max_flat_workgroup_size: 1024
    .name:           _ZN4vllm32dynamic_scaled_int8_quant_kernelIffEEvPKT_PaPT0_i
    .private_segment_fixed_size: 0
    .sgpr_count:     37
    .sgpr_spill_count: 0
    .symbol:         _ZN4vllm32dynamic_scaled_int8_quant_kernelIffEEvPKT_PaPT0_i.kd
    .uniform_work_group_size: 1
    .uses_dynamic_stack: false
    .vgpr_count:     25
    .vgpr_spill_count: 0
    .wavefront_size: 32
    .workgroup_processor_mode: 1
  - .args:
      - .address_space:  global
        .offset:         0
        .size:           8
        .value_kind:     global_buffer
      - .actual_access:  write_only
        .address_space:  global
        .offset:         8
        .size:           8
        .value_kind:     global_buffer
      - .address_space:  global
        .offset:         16
        .size:           8
        .value_kind:     global_buffer
      - .address_space:  global
        .offset:         24
        .size:           8
        .value_kind:     global_buffer
      - .offset:         32
        .size:           4
        .value_kind:     by_value
      - .offset:         40
        .size:           4
        .value_kind:     hidden_block_count_x
      - .offset:         44
        .size:           4
        .value_kind:     hidden_block_count_y
      - .offset:         48
        .size:           4
        .value_kind:     hidden_block_count_z
      - .offset:         52
        .size:           2
        .value_kind:     hidden_group_size_x
      - .offset:         54
        .size:           2
        .value_kind:     hidden_group_size_y
      - .offset:         56
        .size:           2
        .value_kind:     hidden_group_size_z
      - .offset:         58
        .size:           2
        .value_kind:     hidden_remainder_x
      - .offset:         60
        .size:           2
        .value_kind:     hidden_remainder_y
      - .offset:         62
        .size:           2
        .value_kind:     hidden_remainder_z
      - .offset:         80
        .size:           8
        .value_kind:     hidden_global_offset_x
      - .offset:         88
        .size:           8
        .value_kind:     hidden_global_offset_y
      - .offset:         96
        .size:           8
        .value_kind:     hidden_global_offset_z
      - .offset:         104
        .size:           2
        .value_kind:     hidden_grid_dims
    .group_segment_fixed_size: 72
    .kernarg_segment_align: 8
    .kernarg_segment_size: 296
    .language:       OpenCL C
    .language_version:
      - 2
      - 0
    .max_flat_workgroup_size: 1024
    .name:           _ZN4vllm36dynamic_scaled_int8_azp_quant_kernelIffiEEvPKT_PaPT0_PT1_i
    .private_segment_fixed_size: 0
    .sgpr_count:     26
    .sgpr_spill_count: 0
    .symbol:         _ZN4vllm36dynamic_scaled_int8_azp_quant_kernelIffiEEvPKT_PaPT0_PT1_i.kd
    .uniform_work_group_size: 1
    .uses_dynamic_stack: false
    .vgpr_count:     26
    .vgpr_spill_count: 0
    .wavefront_size: 32
    .workgroup_processor_mode: 1
  - .args:
      - .address_space:  global
        .offset:         0
        .size:           8
        .value_kind:     global_buffer
      - .actual_access:  write_only
        .address_space:  global
        .offset:         8
        .size:           8
        .value_kind:     global_buffer
      - .address_space:  global
        .offset:         16
        .size:           8
        .value_kind:     global_buffer
      - .offset:         24
        .size:           4
        .value_kind:     by_value
      - .offset:         32
        .size:           4
        .value_kind:     hidden_block_count_x
      - .offset:         36
        .size:           4
        .value_kind:     hidden_block_count_y
      - .offset:         40
        .size:           4
        .value_kind:     hidden_block_count_z
      - .offset:         44
        .size:           2
        .value_kind:     hidden_group_size_x
      - .offset:         46
        .size:           2
        .value_kind:     hidden_group_size_y
      - .offset:         48
        .size:           2
        .value_kind:     hidden_group_size_z
      - .offset:         50
        .size:           2
        .value_kind:     hidden_remainder_x
      - .offset:         52
        .size:           2
        .value_kind:     hidden_remainder_y
      - .offset:         54
        .size:           2
        .value_kind:     hidden_remainder_z
      - .offset:         72
        .size:           8
        .value_kind:     hidden_global_offset_x
      - .offset:         80
        .size:           8
        .value_kind:     hidden_global_offset_y
      - .offset:         88
        .size:           8
        .value_kind:     hidden_global_offset_z
      - .offset:         96
        .size:           2
        .value_kind:     hidden_grid_dims
    .group_segment_fixed_size: 36
    .kernarg_segment_align: 8
    .kernarg_segment_size: 288
    .language:       OpenCL C
    .language_version:
      - 2
      - 0
    .max_flat_workgroup_size: 1024
    .name:           _ZN4vllm32dynamic_scaled_int8_quant_kernelIN3c104HalfEfEEvPKT_PaPT0_i
    .private_segment_fixed_size: 0
    .sgpr_count:     32
    .sgpr_spill_count: 0
    .symbol:         _ZN4vllm32dynamic_scaled_int8_quant_kernelIN3c104HalfEfEEvPKT_PaPT0_i.kd
    .uniform_work_group_size: 1
    .uses_dynamic_stack: false
    .vgpr_count:     26
    .vgpr_spill_count: 0
    .wavefront_size: 32
    .workgroup_processor_mode: 1
  - .args:
      - .address_space:  global
        .offset:         0
        .size:           8
        .value_kind:     global_buffer
      - .actual_access:  write_only
        .address_space:  global
        .offset:         8
        .size:           8
        .value_kind:     global_buffer
      - .address_space:  global
        .offset:         16
        .size:           8
        .value_kind:     global_buffer
      - .address_space:  global
        .offset:         24
        .size:           8
        .value_kind:     global_buffer
      - .offset:         32
        .size:           4
        .value_kind:     by_value
      - .offset:         40
        .size:           4
        .value_kind:     hidden_block_count_x
      - .offset:         44
        .size:           4
        .value_kind:     hidden_block_count_y
      - .offset:         48
        .size:           4
        .value_kind:     hidden_block_count_z
      - .offset:         52
        .size:           2
        .value_kind:     hidden_group_size_x
      - .offset:         54
        .size:           2
        .value_kind:     hidden_group_size_y
      - .offset:         56
        .size:           2
        .value_kind:     hidden_group_size_z
      - .offset:         58
        .size:           2
        .value_kind:     hidden_remainder_x
      - .offset:         60
        .size:           2
        .value_kind:     hidden_remainder_y
      - .offset:         62
        .size:           2
        .value_kind:     hidden_remainder_z
      - .offset:         80
        .size:           8
        .value_kind:     hidden_global_offset_x
      - .offset:         88
        .size:           8
        .value_kind:     hidden_global_offset_y
      - .offset:         96
        .size:           8
        .value_kind:     hidden_global_offset_z
      - .offset:         104
        .size:           2
        .value_kind:     hidden_grid_dims
    .group_segment_fixed_size: 72
    .kernarg_segment_align: 8
    .kernarg_segment_size: 296
    .language:       OpenCL C
    .language_version:
      - 2
      - 0
    .max_flat_workgroup_size: 1024
    .name:           _ZN4vllm36dynamic_scaled_int8_azp_quant_kernelIN3c104HalfEfiEEvPKT_PaPT0_PT1_i
    .private_segment_fixed_size: 0
    .sgpr_count:     46
    .sgpr_spill_count: 0
    .symbol:         _ZN4vllm36dynamic_scaled_int8_azp_quant_kernelIN3c104HalfEfiEEvPKT_PaPT0_PT1_i.kd
    .uniform_work_group_size: 1
    .uses_dynamic_stack: false
    .vgpr_count:     63
    .vgpr_spill_count: 0
    .wavefront_size: 32
    .workgroup_processor_mode: 1
  - .args:
      - .address_space:  global
        .offset:         0
        .size:           8
        .value_kind:     global_buffer
      - .actual_access:  write_only
        .address_space:  global
        .offset:         8
        .size:           8
        .value_kind:     global_buffer
      - .address_space:  global
        .offset:         16
        .size:           8
        .value_kind:     global_buffer
      - .offset:         24
        .size:           4
        .value_kind:     by_value
      - .offset:         32
        .size:           4
        .value_kind:     hidden_block_count_x
      - .offset:         36
        .size:           4
        .value_kind:     hidden_block_count_y
      - .offset:         40
        .size:           4
        .value_kind:     hidden_block_count_z
      - .offset:         44
        .size:           2
        .value_kind:     hidden_group_size_x
      - .offset:         46
        .size:           2
        .value_kind:     hidden_group_size_y
      - .offset:         48
        .size:           2
        .value_kind:     hidden_group_size_z
      - .offset:         50
        .size:           2
        .value_kind:     hidden_remainder_x
      - .offset:         52
        .size:           2
        .value_kind:     hidden_remainder_y
      - .offset:         54
        .size:           2
        .value_kind:     hidden_remainder_z
      - .offset:         72
        .size:           8
        .value_kind:     hidden_global_offset_x
      - .offset:         80
        .size:           8
        .value_kind:     hidden_global_offset_y
      - .offset:         88
        .size:           8
        .value_kind:     hidden_global_offset_z
      - .offset:         96
        .size:           2
        .value_kind:     hidden_grid_dims
    .group_segment_fixed_size: 36
    .kernarg_segment_align: 8
    .kernarg_segment_size: 288
    .language:       OpenCL C
    .language_version:
      - 2
      - 0
    .max_flat_workgroup_size: 1024
    .name:           _ZN4vllm32dynamic_scaled_int8_quant_kernelIN3c108BFloat16EfEEvPKT_PaPT0_i
    .private_segment_fixed_size: 0
    .sgpr_count:     41
    .sgpr_spill_count: 0
    .symbol:         _ZN4vllm32dynamic_scaled_int8_quant_kernelIN3c108BFloat16EfEEvPKT_PaPT0_i.kd
    .uniform_work_group_size: 1
    .uses_dynamic_stack: false
    .vgpr_count:     26
    .vgpr_spill_count: 0
    .wavefront_size: 32
    .workgroup_processor_mode: 1
  - .args:
      - .address_space:  global
        .offset:         0
        .size:           8
        .value_kind:     global_buffer
      - .actual_access:  write_only
        .address_space:  global
        .offset:         8
        .size:           8
        .value_kind:     global_buffer
      - .address_space:  global
        .offset:         16
        .size:           8
        .value_kind:     global_buffer
      - .address_space:  global
        .offset:         24
        .size:           8
        .value_kind:     global_buffer
      - .offset:         32
        .size:           4
        .value_kind:     by_value
      - .offset:         40
        .size:           4
        .value_kind:     hidden_block_count_x
      - .offset:         44
        .size:           4
        .value_kind:     hidden_block_count_y
      - .offset:         48
        .size:           4
        .value_kind:     hidden_block_count_z
      - .offset:         52
        .size:           2
        .value_kind:     hidden_group_size_x
      - .offset:         54
        .size:           2
        .value_kind:     hidden_group_size_y
      - .offset:         56
        .size:           2
        .value_kind:     hidden_group_size_z
      - .offset:         58
        .size:           2
        .value_kind:     hidden_remainder_x
      - .offset:         60
        .size:           2
        .value_kind:     hidden_remainder_y
      - .offset:         62
        .size:           2
        .value_kind:     hidden_remainder_z
      - .offset:         80
        .size:           8
        .value_kind:     hidden_global_offset_x
      - .offset:         88
        .size:           8
        .value_kind:     hidden_global_offset_y
      - .offset:         96
        .size:           8
        .value_kind:     hidden_global_offset_z
      - .offset:         104
        .size:           2
        .value_kind:     hidden_grid_dims
    .group_segment_fixed_size: 72
    .kernarg_segment_align: 8
    .kernarg_segment_size: 296
    .language:       OpenCL C
    .language_version:
      - 2
      - 0
    .max_flat_workgroup_size: 1024
    .name:           _ZN4vllm36dynamic_scaled_int8_azp_quant_kernelIN3c108BFloat16EfiEEvPKT_PaPT0_PT1_i
    .private_segment_fixed_size: 0
    .sgpr_count:     62
    .sgpr_spill_count: 0
    .symbol:         _ZN4vllm36dynamic_scaled_int8_azp_quant_kernelIN3c108BFloat16EfiEEvPKT_PaPT0_PT1_i.kd
    .uniform_work_group_size: 1
    .uses_dynamic_stack: false
    .vgpr_count:     78
    .vgpr_spill_count: 0
    .wavefront_size: 32
    .workgroup_processor_mode: 1
amdhsa.target:   amdgcn-amd-amdhsa--gfx1100
amdhsa.version:
  - 1
  - 2
...

	.end_amdgpu_metadata
